;; amdgpu-corpus repo=ROCm/rocSPARSE kind=compiled arch=gfx1030 opt=O3
	.amdgcn_target "amdgcn-amd-amdhsa--gfx1030"
	.amdhsa_code_object_version 6
	.section	.text._ZN9rocsparseL17kernel_correctionILi1024ELi1EfiiEEvT3_T2_PKS2_S4_PKS1_PKT1_21rocsparse_index_base_S4_S4_S6_S9_PS7_SA_S4_S4_S6_S9_SB_SA_S9_SB_,"axG",@progbits,_ZN9rocsparseL17kernel_correctionILi1024ELi1EfiiEEvT3_T2_PKS2_S4_PKS1_PKT1_21rocsparse_index_base_S4_S4_S6_S9_PS7_SA_S4_S4_S6_S9_SB_SA_S9_SB_,comdat
	.globl	_ZN9rocsparseL17kernel_correctionILi1024ELi1EfiiEEvT3_T2_PKS2_S4_PKS1_PKT1_21rocsparse_index_base_S4_S4_S6_S9_PS7_SA_S4_S4_S6_S9_SB_SA_S9_SB_ ; -- Begin function _ZN9rocsparseL17kernel_correctionILi1024ELi1EfiiEEvT3_T2_PKS2_S4_PKS1_PKT1_21rocsparse_index_base_S4_S4_S6_S9_PS7_SA_S4_S4_S6_S9_SB_SA_S9_SB_
	.p2align	8
	.type	_ZN9rocsparseL17kernel_correctionILi1024ELi1EfiiEEvT3_T2_PKS2_S4_PKS1_PKT1_21rocsparse_index_base_S4_S4_S6_S9_PS7_SA_S4_S4_S6_S9_SB_SA_S9_SB_,@function
_ZN9rocsparseL17kernel_correctionILi1024ELi1EfiiEEvT3_T2_PKS2_S4_PKS1_PKT1_21rocsparse_index_base_S4_S4_S6_S9_PS7_SA_S4_S4_S6_S9_SB_SA_S9_SB_: ; @_ZN9rocsparseL17kernel_correctionILi1024ELi1EfiiEEvT3_T2_PKS2_S4_PKS1_PKT1_21rocsparse_index_base_S4_S4_S6_S9_PS7_SA_S4_S4_S6_S9_SB_SA_S9_SB_
; %bb.0:
	s_load_dword s33, s[4:5], 0x0
	s_lshl_b32 s34, s6, 10
	s_mov_b32 s0, exec_lo
	v_or_b32_e32 v0, s34, v0
	s_waitcnt lgkmcnt(0)
	v_cmpx_gt_i32_e64 s33, v0
	s_cbranch_execz .LBB0_40
; %bb.1:
	s_addk_i32 s34, 0x400
	v_cmp_gt_u32_e32 vcc_lo, s34, v0
	s_and_b32 exec_lo, exec_lo, vcc_lo
	s_cbranch_execz .LBB0_40
; %bb.2:
	s_clause 0x8
	s_load_dwordx4 s[36:39], s[4:5], 0x90
	s_load_dwordx8 s[8:15], s[4:5], 0x60
	s_load_dwordx8 s[16:23], s[4:5], 0x30
	;; [unrolled: 1-line block ×3, first 2 shown]
	s_load_dword s35, s[4:5], 0x28
	s_load_dwordx2 s[2:3], s[4:5], 0x50
	s_load_dword s40, s[4:5], 0x58
	s_load_dwordx2 s[6:7], s[4:5], 0x80
	s_load_dword s4, s[4:5], 0x88
	v_mov_b32_e32 v2, 0
	s_mov_b32 s5, 0
	s_branch .LBB0_4
.LBB0_3:                                ;   in Loop: Header=BB0_4 Depth=1
	s_or_b32 exec_lo, exec_lo, s41
	v_add_nc_u32_e32 v0, 0x400, v0
	v_cmp_le_u32_e32 vcc_lo, s34, v0
	s_or_b32 s5, vcc_lo, s5
	s_andn2_b32 exec_lo, exec_lo, s5
	s_cbranch_execz .LBB0_40
.LBB0_4:                                ; =>This Loop Header: Depth=1
                                        ;     Child Loop BB0_8 Depth 2
                                        ;       Child Loop BB0_12 Depth 3
                                        ;       Child Loop BB0_26 Depth 3
	;; [unrolled: 1-line block ×3, first 2 shown]
	s_mov_b32 s41, exec_lo
	v_cmpx_gt_i32_e64 s33, v0
	s_cbranch_execz .LBB0_3
; %bb.5:                                ;   in Loop: Header=BB0_4 Depth=1
	v_ashrrev_i32_e32 v1, 31, v0
	v_lshlrev_b64 v[3:4], 2, v[0:1]
	s_waitcnt lgkmcnt(0)
	v_add_co_u32 v5, vcc_lo, s24, v3
	v_add_co_ci_u32_e64 v6, null, s25, v4, vcc_lo
	v_add_co_u32 v7, vcc_lo, s26, v3
	v_add_co_ci_u32_e64 v8, null, s27, v4, vcc_lo
	global_load_dword v1, v[5:6], off
	global_load_dword v5, v[7:8], off
	s_waitcnt vmcnt(0)
	v_cmp_lt_i32_e32 vcc_lo, v1, v5
	s_and_b32 exec_lo, exec_lo, vcc_lo
	s_cbranch_execz .LBB0_3
; %bb.6:                                ;   in Loop: Header=BB0_4 Depth=1
	v_add_co_u32 v6, vcc_lo, s16, v3
	v_add_co_ci_u32_e64 v7, null, s17, v4, vcc_lo
	v_add_co_u32 v3, vcc_lo, s18, v3
	v_add_co_ci_u32_e64 v4, null, s19, v4, vcc_lo
	global_load_dword v8, v[6:7], off
	v_subrev_nc_u32_e32 v17, s35, v5
	s_mov_b32 s42, 0
	global_load_dword v9, v[3:4], off
	s_waitcnt vmcnt(1)
	v_subrev_nc_u32_e32 v3, s40, v8
	s_waitcnt vmcnt(0)
	v_sub_nc_u32_e32 v18, v9, v8
	v_ashrrev_i32_e32 v4, 31, v3
	v_cmp_lt_i32_e64 s0, 0, v18
	v_lshlrev_b64 v[6:7], 2, v[3:4]
	v_subrev_nc_u32_e32 v4, s35, v1
	v_add_co_u32 v19, vcc_lo, s20, v6
	v_add_co_ci_u32_e64 v20, null, s21, v7, vcc_lo
	v_add_co_u32 v21, vcc_lo, s22, v6
	v_add_co_ci_u32_e64 v22, null, s23, v7, vcc_lo
	s_branch .LBB0_8
.LBB0_7:                                ;   in Loop: Header=BB0_8 Depth=2
	s_or_b32 exec_lo, exec_lo, s43
	v_add_nc_u32_e32 v4, 1, v4
	v_cmp_ge_i32_e32 vcc_lo, v4, v17
	s_or_b32 s42, vcc_lo, s42
	s_andn2_b32 exec_lo, exec_lo, s42
	s_cbranch_execz .LBB0_3
.LBB0_8:                                ;   Parent Loop BB0_4 Depth=1
                                        ; =>  This Loop Header: Depth=2
                                        ;       Child Loop BB0_12 Depth 3
                                        ;       Child Loop BB0_26 Depth 3
	;; [unrolled: 1-line block ×3, first 2 shown]
	v_ashrrev_i32_e32 v5, 31, v4
	v_mov_b32_e32 v24, 0
	v_lshlrev_b64 v[11:12], 2, v[4:5]
	v_add_co_u32 v5, vcc_lo, s28, v11
	v_add_co_ci_u32_e64 v6, null, s29, v12, vcc_lo
	global_load_dword v1, v[5:6], off
	s_waitcnt vmcnt(0)
	v_subrev_nc_u32_e32 v5, s35, v1
	v_ashrrev_i32_e32 v6, 31, v5
	v_lshlrev_b64 v[9:10], 2, v[5:6]
	v_add_co_u32 v6, vcc_lo, s8, v9
	v_add_co_ci_u32_e64 v7, null, s9, v10, vcc_lo
	v_add_co_u32 v13, vcc_lo, s10, v9
	v_add_co_ci_u32_e64 v14, null, s11, v10, vcc_lo
	global_load_dword v1, v[6:7], off
	global_load_dword v8, v[13:14], off
	v_mov_b32_e32 v7, 0
	s_waitcnt vmcnt(1)
	v_subrev_nc_u32_e32 v6, s4, v1
	s_waitcnt vmcnt(0)
	v_sub_nc_u32_e32 v23, v8, v1
	v_mov_b32_e32 v1, v7
	s_and_saveexec_b32 s43, s0
	s_cbranch_execz .LBB0_16
; %bb.9:                                ;   in Loop: Header=BB0_8 Depth=2
	v_ashrrev_i32_e32 v7, 31, v6
	v_mov_b32_e32 v24, 0
	v_mov_b32_e32 v1, 0
	s_mov_b32 s44, 0
                                        ; implicit-def: $sgpr45
	v_lshlrev_b64 v[7:8], 2, v[6:7]
	v_add_co_u32 v25, vcc_lo, s12, v7
	v_add_co_ci_u32_e64 v26, null, s13, v8, vcc_lo
	v_add_co_u32 v27, vcc_lo, s14, v7
	v_add_co_ci_u32_e64 v28, null, s15, v8, vcc_lo
	v_mov_b32_e32 v7, 0
	s_branch .LBB0_12
.LBB0_10:                               ;   in Loop: Header=BB0_12 Depth=3
	s_or_b32 exec_lo, exec_lo, s1
	v_cmp_le_i32_e32 vcc_lo, v8, v29
	v_cmp_ge_i32_e64 s1, v8, v29
	v_add_co_ci_u32_e64 v1, null, 0, v1, vcc_lo
	v_add_co_ci_u32_e64 v7, null, 0, v7, s1
	s_andn2_b32 s1, s45, exec_lo
	v_cmp_ge_i32_e32 vcc_lo, v1, v18
	s_and_b32 s45, vcc_lo, exec_lo
	s_or_b32 s45, s1, s45
.LBB0_11:                               ;   in Loop: Header=BB0_12 Depth=3
	s_or_b32 exec_lo, exec_lo, s46
	s_and_b32 s1, exec_lo, s45
	s_or_b32 s44, s1, s44
	s_andn2_b32 exec_lo, exec_lo, s44
	s_cbranch_execz .LBB0_15
.LBB0_12:                               ;   Parent Loop BB0_4 Depth=1
                                        ;     Parent Loop BB0_8 Depth=2
                                        ; =>    This Inner Loop Header: Depth=3
	s_or_b32 s45, s45, exec_lo
	s_mov_b32 s46, exec_lo
	v_cmpx_lt_i32_e64 v7, v23
	s_cbranch_execz .LBB0_11
; %bb.13:                               ;   in Loop: Header=BB0_12 Depth=3
	v_mov_b32_e32 v8, v2
	v_lshlrev_b64 v[15:16], 2, v[1:2]
	s_mov_b32 s1, exec_lo
	v_lshlrev_b64 v[13:14], 2, v[7:8]
	v_add_co_u32 v29, vcc_lo, v19, v15
	v_add_co_ci_u32_e64 v30, null, v20, v16, vcc_lo
	v_add_co_u32 v31, vcc_lo, v25, v13
	v_add_co_ci_u32_e64 v32, null, v26, v14, vcc_lo
	global_load_dword v8, v[29:30], off
	global_load_dword v29, v[31:32], off
	s_waitcnt vmcnt(1)
	v_subrev_nc_u32_e32 v8, s40, v8
	s_waitcnt vmcnt(0)
	v_subrev_nc_u32_e32 v29, s4, v29
	v_cmpx_eq_u32_e64 v8, v29
	s_cbranch_execz .LBB0_10
; %bb.14:                               ;   in Loop: Header=BB0_12 Depth=3
	v_add_co_u32 v15, vcc_lo, v21, v15
	v_add_co_ci_u32_e64 v16, null, v22, v16, vcc_lo
	v_add_co_u32 v13, vcc_lo, v27, v13
	v_add_co_ci_u32_e64 v14, null, v28, v14, vcc_lo
	global_load_dword v15, v[15:16], off
	global_load_dword v13, v[13:14], off
	s_waitcnt vmcnt(0)
	v_fmac_f32_e32 v24, v15, v13
	s_branch .LBB0_10
.LBB0_15:                               ;   in Loop: Header=BB0_8 Depth=2
	s_or_b32 exec_lo, exec_lo, s44
.LBB0_16:                               ;   in Loop: Header=BB0_8 Depth=2
	s_or_b32 exec_lo, exec_lo, s43
	v_add_co_u32 v11, vcc_lo, s30, v11
	v_add_co_ci_u32_e64 v12, null, s31, v12, vcc_lo
	v_cmp_le_i32_e64 s1, v0, v5
	s_mov_b32 s43, exec_lo
	global_load_dword v8, v[11:12], off
	s_waitcnt vmcnt(0)
	v_sub_f32_e32 v11, v8, v24
	v_cmpx_gt_i32_e64 v0, v5
	s_cbranch_execz .LBB0_18
; %bb.17:                               ;   in Loop: Header=BB0_8 Depth=2
	v_add_co_u32 v12, vcc_lo, s36, v9
	v_add_co_ci_u32_e64 v13, null, s37, v10, vcc_lo
	global_load_dword v8, v[12:13], off
	s_waitcnt vmcnt(0)
	v_div_scale_f32 v12, null, v8, v8, v11
	v_rcp_f32_e32 v13, v12
	v_fma_f32 v14, -v12, v13, 1.0
	v_fmac_f32_e32 v13, v14, v13
	v_div_scale_f32 v14, vcc_lo, v11, v8, v11
	v_mul_f32_e32 v15, v14, v13
	v_fma_f32 v16, -v12, v15, v14
	v_fmac_f32_e32 v15, v16, v13
	v_fma_f32 v12, -v12, v15, v14
	v_div_fmas_f32 v12, v12, v13, v15
	v_div_fixup_f32 v11, v12, v8, v11
.LBB0_18:                               ;   in Loop: Header=BB0_8 Depth=2
	s_or_b32 exec_lo, exec_lo, s43
	v_cmp_class_f32_e64 s44, v11, 0x1f8
	s_and_saveexec_b32 s43, s44
	s_cbranch_execz .LBB0_7
; %bb.19:                               ;   in Loop: Header=BB0_8 Depth=2
	s_and_saveexec_b32 s44, s1
	s_xor_b32 s1, exec_lo, s44
	s_cbranch_execz .LBB0_32
; %bb.20:                               ;   in Loop: Header=BB0_8 Depth=2
	s_mov_b32 s44, exec_lo
	v_cmpx_ge_i32_e64 v0, v5
	s_xor_b32 s44, exec_lo, s44
	s_cbranch_execz .LBB0_22
; %bb.21:                               ;   in Loop: Header=BB0_8 Depth=2
	v_add_co_u32 v5, vcc_lo, s38, v9
	v_add_co_ci_u32_e64 v6, null, s39, v10, vcc_lo
                                        ; implicit-def: $vgpr7
                                        ; implicit-def: $vgpr23
	global_store_dword v[5:6], v11, off
                                        ; implicit-def: $vgpr11
                                        ; implicit-def: $vgpr6
.LBB0_22:                               ;   in Loop: Header=BB0_8 Depth=2
	s_andn2_saveexec_b32 s44, s44
	s_cbranch_execz .LBB0_31
; %bb.23:                               ;   in Loop: Header=BB0_8 Depth=2
	s_mov_b32 s45, exec_lo
	v_cmpx_lt_i32_e64 v7, v23
	s_cbranch_execz .LBB0_30
; %bb.24:                               ;   in Loop: Header=BB0_8 Depth=2
	s_mov_b32 s46, 0
                                        ; implicit-def: $sgpr47
                                        ; implicit-def: $sgpr49
                                        ; implicit-def: $sgpr48
	s_inst_prefetch 0x1
	s_branch .LBB0_26
	.p2align	6
.LBB0_25:                               ;   in Loop: Header=BB0_26 Depth=3
	s_or_b32 exec_lo, exec_lo, s50
	s_and_b32 s50, exec_lo, s49
	s_or_b32 s46, s50, s46
	s_andn2_b32 s47, s47, exec_lo
	s_and_b32 s50, s48, exec_lo
	s_or_b32 s47, s47, s50
	s_andn2_b32 exec_lo, exec_lo, s46
	s_cbranch_execz .LBB0_28
.LBB0_26:                               ;   Parent Loop BB0_4 Depth=1
                                        ;     Parent Loop BB0_8 Depth=2
                                        ; =>    This Inner Loop Header: Depth=3
	v_add_nc_u32_e32 v8, v6, v7
	s_or_b32 s48, s48, exec_lo
	s_or_b32 s49, s49, exec_lo
	s_mov_b32 s50, exec_lo
	v_ashrrev_i32_e32 v9, 31, v8
	v_lshlrev_b64 v[8:9], 2, v[8:9]
	v_add_co_u32 v12, vcc_lo, s12, v8
	v_add_co_ci_u32_e64 v13, null, s13, v9, vcc_lo
	global_load_dword v1, v[12:13], off
	s_waitcnt vmcnt(0)
	v_subrev_nc_u32_e32 v1, s4, v1
	v_cmpx_ne_u32_e64 v1, v0
	s_cbranch_execz .LBB0_25
; %bb.27:                               ;   in Loop: Header=BB0_26 Depth=3
	v_add_nc_u32_e32 v7, 1, v7
	s_andn2_b32 s49, s49, exec_lo
	s_andn2_b32 s48, s48, exec_lo
	v_cmp_ge_i32_e32 vcc_lo, v7, v23
	s_and_b32 s51, vcc_lo, exec_lo
	s_or_b32 s49, s49, s51
	s_branch .LBB0_25
.LBB0_28:                               ;   in Loop: Header=BB0_8 Depth=2
	s_inst_prefetch 0x2
	s_or_b32 exec_lo, exec_lo, s46
	s_and_saveexec_b32 s46, s47
	s_xor_b32 s46, exec_lo, s46
	s_cbranch_execz .LBB0_30
; %bb.29:                               ;   in Loop: Header=BB0_8 Depth=2
	v_add_co_u32 v5, vcc_lo, s6, v8
	v_add_co_ci_u32_e64 v6, null, s7, v9, vcc_lo
	global_store_dword v[5:6], v11, off
.LBB0_30:                               ;   in Loop: Header=BB0_8 Depth=2
	s_or_b32 exec_lo, exec_lo, s45
.LBB0_31:                               ;   in Loop: Header=BB0_8 Depth=2
	s_or_b32 exec_lo, exec_lo, s44
                                        ; implicit-def: $vgpr11
                                        ; implicit-def: $vgpr5_vgpr6
.LBB0_32:                               ;   in Loop: Header=BB0_8 Depth=2
	s_andn2_saveexec_b32 s1, s1
	s_cbranch_execz .LBB0_7
; %bb.33:                               ;   in Loop: Header=BB0_8 Depth=2
	v_cmp_lt_i32_e32 vcc_lo, v1, v18
	s_and_b32 exec_lo, exec_lo, vcc_lo
	s_cbranch_execz .LBB0_7
; %bb.34:                               ;   in Loop: Header=BB0_8 Depth=2
	s_mov_b32 s1, 0
                                        ; implicit-def: $sgpr44
                                        ; implicit-def: $sgpr46
                                        ; implicit-def: $sgpr45
	s_inst_prefetch 0x1
	s_branch .LBB0_36
	.p2align	6
.LBB0_35:                               ;   in Loop: Header=BB0_36 Depth=3
	s_or_b32 exec_lo, exec_lo, s47
	s_and_b32 s47, exec_lo, s46
	s_or_b32 s1, s47, s1
	s_andn2_b32 s44, s44, exec_lo
	s_and_b32 s47, s45, exec_lo
	s_or_b32 s44, s44, s47
	s_andn2_b32 exec_lo, exec_lo, s1
	s_cbranch_execz .LBB0_38
.LBB0_36:                               ;   Parent Loop BB0_4 Depth=1
                                        ;     Parent Loop BB0_8 Depth=2
                                        ; =>    This Inner Loop Header: Depth=3
	v_add_nc_u32_e32 v6, v3, v1
	s_or_b32 s45, s45, exec_lo
	s_or_b32 s46, s46, exec_lo
	s_mov_b32 s47, exec_lo
	v_ashrrev_i32_e32 v7, 31, v6
	v_lshlrev_b64 v[6:7], 2, v[6:7]
	v_add_co_u32 v8, vcc_lo, s20, v6
	v_add_co_ci_u32_e64 v9, null, s21, v7, vcc_lo
	global_load_dword v8, v[8:9], off
	s_waitcnt vmcnt(0)
	v_subrev_nc_u32_e32 v8, s40, v8
	v_cmpx_ne_u32_e64 v8, v5
	s_cbranch_execz .LBB0_35
; %bb.37:                               ;   in Loop: Header=BB0_36 Depth=3
	v_add_nc_u32_e32 v1, 1, v1
	s_andn2_b32 s46, s46, exec_lo
	s_andn2_b32 s45, s45, exec_lo
	v_cmp_ge_i32_e32 vcc_lo, v1, v18
	s_and_b32 s48, vcc_lo, exec_lo
	s_or_b32 s46, s46, s48
	s_branch .LBB0_35
.LBB0_38:                               ;   in Loop: Header=BB0_8 Depth=2
	s_inst_prefetch 0x2
	s_or_b32 exec_lo, exec_lo, s1
	s_and_saveexec_b32 s1, s44
	s_xor_b32 s1, exec_lo, s1
	s_cbranch_execz .LBB0_7
; %bb.39:                               ;   in Loop: Header=BB0_8 Depth=2
	v_add_co_u32 v5, vcc_lo, s2, v6
	v_add_co_ci_u32_e64 v6, null, s3, v7, vcc_lo
	global_store_dword v[5:6], v11, off
	s_branch .LBB0_7
.LBB0_40:
	s_endpgm
	.section	.rodata,"a",@progbits
	.p2align	6, 0x0
	.amdhsa_kernel _ZN9rocsparseL17kernel_correctionILi1024ELi1EfiiEEvT3_T2_PKS2_S4_PKS1_PKT1_21rocsparse_index_base_S4_S4_S6_S9_PS7_SA_S4_S4_S6_S9_SB_SA_S9_SB_
		.amdhsa_group_segment_fixed_size 0
		.amdhsa_private_segment_fixed_size 0
		.amdhsa_kernarg_size 160
		.amdhsa_user_sgpr_count 6
		.amdhsa_user_sgpr_private_segment_buffer 1
		.amdhsa_user_sgpr_dispatch_ptr 0
		.amdhsa_user_sgpr_queue_ptr 0
		.amdhsa_user_sgpr_kernarg_segment_ptr 1
		.amdhsa_user_sgpr_dispatch_id 0
		.amdhsa_user_sgpr_flat_scratch_init 0
		.amdhsa_user_sgpr_private_segment_size 0
		.amdhsa_wavefront_size32 1
		.amdhsa_uses_dynamic_stack 0
		.amdhsa_system_sgpr_private_segment_wavefront_offset 0
		.amdhsa_system_sgpr_workgroup_id_x 1
		.amdhsa_system_sgpr_workgroup_id_y 0
		.amdhsa_system_sgpr_workgroup_id_z 0
		.amdhsa_system_sgpr_workgroup_info 0
		.amdhsa_system_vgpr_workitem_id 0
		.amdhsa_next_free_vgpr 33
		.amdhsa_next_free_sgpr 52
		.amdhsa_reserve_vcc 1
		.amdhsa_reserve_flat_scratch 0
		.amdhsa_float_round_mode_32 0
		.amdhsa_float_round_mode_16_64 0
		.amdhsa_float_denorm_mode_32 3
		.amdhsa_float_denorm_mode_16_64 3
		.amdhsa_dx10_clamp 1
		.amdhsa_ieee_mode 1
		.amdhsa_fp16_overflow 0
		.amdhsa_workgroup_processor_mode 1
		.amdhsa_memory_ordered 1
		.amdhsa_forward_progress 1
		.amdhsa_shared_vgpr_count 0
		.amdhsa_exception_fp_ieee_invalid_op 0
		.amdhsa_exception_fp_denorm_src 0
		.amdhsa_exception_fp_ieee_div_zero 0
		.amdhsa_exception_fp_ieee_overflow 0
		.amdhsa_exception_fp_ieee_underflow 0
		.amdhsa_exception_fp_ieee_inexact 0
		.amdhsa_exception_int_div_zero 0
	.end_amdhsa_kernel
	.section	.text._ZN9rocsparseL17kernel_correctionILi1024ELi1EfiiEEvT3_T2_PKS2_S4_PKS1_PKT1_21rocsparse_index_base_S4_S4_S6_S9_PS7_SA_S4_S4_S6_S9_SB_SA_S9_SB_,"axG",@progbits,_ZN9rocsparseL17kernel_correctionILi1024ELi1EfiiEEvT3_T2_PKS2_S4_PKS1_PKT1_21rocsparse_index_base_S4_S4_S6_S9_PS7_SA_S4_S4_S6_S9_SB_SA_S9_SB_,comdat
.Lfunc_end0:
	.size	_ZN9rocsparseL17kernel_correctionILi1024ELi1EfiiEEvT3_T2_PKS2_S4_PKS1_PKT1_21rocsparse_index_base_S4_S4_S6_S9_PS7_SA_S4_S4_S6_S9_SB_SA_S9_SB_, .Lfunc_end0-_ZN9rocsparseL17kernel_correctionILi1024ELi1EfiiEEvT3_T2_PKS2_S4_PKS1_PKT1_21rocsparse_index_base_S4_S4_S6_S9_PS7_SA_S4_S4_S6_S9_SB_SA_S9_SB_
                                        ; -- End function
	.set _ZN9rocsparseL17kernel_correctionILi1024ELi1EfiiEEvT3_T2_PKS2_S4_PKS1_PKT1_21rocsparse_index_base_S4_S4_S6_S9_PS7_SA_S4_S4_S6_S9_SB_SA_S9_SB_.num_vgpr, 33
	.set _ZN9rocsparseL17kernel_correctionILi1024ELi1EfiiEEvT3_T2_PKS2_S4_PKS1_PKT1_21rocsparse_index_base_S4_S4_S6_S9_PS7_SA_S4_S4_S6_S9_SB_SA_S9_SB_.num_agpr, 0
	.set _ZN9rocsparseL17kernel_correctionILi1024ELi1EfiiEEvT3_T2_PKS2_S4_PKS1_PKT1_21rocsparse_index_base_S4_S4_S6_S9_PS7_SA_S4_S4_S6_S9_SB_SA_S9_SB_.numbered_sgpr, 52
	.set _ZN9rocsparseL17kernel_correctionILi1024ELi1EfiiEEvT3_T2_PKS2_S4_PKS1_PKT1_21rocsparse_index_base_S4_S4_S6_S9_PS7_SA_S4_S4_S6_S9_SB_SA_S9_SB_.num_named_barrier, 0
	.set _ZN9rocsparseL17kernel_correctionILi1024ELi1EfiiEEvT3_T2_PKS2_S4_PKS1_PKT1_21rocsparse_index_base_S4_S4_S6_S9_PS7_SA_S4_S4_S6_S9_SB_SA_S9_SB_.private_seg_size, 0
	.set _ZN9rocsparseL17kernel_correctionILi1024ELi1EfiiEEvT3_T2_PKS2_S4_PKS1_PKT1_21rocsparse_index_base_S4_S4_S6_S9_PS7_SA_S4_S4_S6_S9_SB_SA_S9_SB_.uses_vcc, 1
	.set _ZN9rocsparseL17kernel_correctionILi1024ELi1EfiiEEvT3_T2_PKS2_S4_PKS1_PKT1_21rocsparse_index_base_S4_S4_S6_S9_PS7_SA_S4_S4_S6_S9_SB_SA_S9_SB_.uses_flat_scratch, 0
	.set _ZN9rocsparseL17kernel_correctionILi1024ELi1EfiiEEvT3_T2_PKS2_S4_PKS1_PKT1_21rocsparse_index_base_S4_S4_S6_S9_PS7_SA_S4_S4_S6_S9_SB_SA_S9_SB_.has_dyn_sized_stack, 0
	.set _ZN9rocsparseL17kernel_correctionILi1024ELi1EfiiEEvT3_T2_PKS2_S4_PKS1_PKT1_21rocsparse_index_base_S4_S4_S6_S9_PS7_SA_S4_S4_S6_S9_SB_SA_S9_SB_.has_recursion, 0
	.set _ZN9rocsparseL17kernel_correctionILi1024ELi1EfiiEEvT3_T2_PKS2_S4_PKS1_PKT1_21rocsparse_index_base_S4_S4_S6_S9_PS7_SA_S4_S4_S6_S9_SB_SA_S9_SB_.has_indirect_call, 0
	.section	.AMDGPU.csdata,"",@progbits
; Kernel info:
; codeLenInByte = 1592
; TotalNumSgprs: 54
; NumVgprs: 33
; ScratchSize: 0
; MemoryBound: 0
; FloatMode: 240
; IeeeMode: 1
; LDSByteSize: 0 bytes/workgroup (compile time only)
; SGPRBlocks: 0
; VGPRBlocks: 4
; NumSGPRsForWavesPerEU: 54
; NumVGPRsForWavesPerEU: 33
; Occupancy: 16
; WaveLimiterHint : 1
; COMPUTE_PGM_RSRC2:SCRATCH_EN: 0
; COMPUTE_PGM_RSRC2:USER_SGPR: 6
; COMPUTE_PGM_RSRC2:TRAP_HANDLER: 0
; COMPUTE_PGM_RSRC2:TGID_X_EN: 1
; COMPUTE_PGM_RSRC2:TGID_Y_EN: 0
; COMPUTE_PGM_RSRC2:TGID_Z_EN: 0
; COMPUTE_PGM_RSRC2:TIDIG_COMP_CNT: 0
	.section	.text._ZN9rocsparseL17kernel_correctionILi1024ELi2EfiiEEvT3_T2_PKS2_S4_PKS1_PKT1_21rocsparse_index_base_S4_S4_S6_S9_PS7_SA_S4_S4_S6_S9_SB_SA_S9_SB_,"axG",@progbits,_ZN9rocsparseL17kernel_correctionILi1024ELi2EfiiEEvT3_T2_PKS2_S4_PKS1_PKT1_21rocsparse_index_base_S4_S4_S6_S9_PS7_SA_S4_S4_S6_S9_SB_SA_S9_SB_,comdat
	.globl	_ZN9rocsparseL17kernel_correctionILi1024ELi2EfiiEEvT3_T2_PKS2_S4_PKS1_PKT1_21rocsparse_index_base_S4_S4_S6_S9_PS7_SA_S4_S4_S6_S9_SB_SA_S9_SB_ ; -- Begin function _ZN9rocsparseL17kernel_correctionILi1024ELi2EfiiEEvT3_T2_PKS2_S4_PKS1_PKT1_21rocsparse_index_base_S4_S4_S6_S9_PS7_SA_S4_S4_S6_S9_SB_SA_S9_SB_
	.p2align	8
	.type	_ZN9rocsparseL17kernel_correctionILi1024ELi2EfiiEEvT3_T2_PKS2_S4_PKS1_PKT1_21rocsparse_index_base_S4_S4_S6_S9_PS7_SA_S4_S4_S6_S9_SB_SA_S9_SB_,@function
_ZN9rocsparseL17kernel_correctionILi1024ELi2EfiiEEvT3_T2_PKS2_S4_PKS1_PKT1_21rocsparse_index_base_S4_S4_S6_S9_PS7_SA_S4_S4_S6_S9_SB_SA_S9_SB_: ; @_ZN9rocsparseL17kernel_correctionILi1024ELi2EfiiEEvT3_T2_PKS2_S4_PKS1_PKT1_21rocsparse_index_base_S4_S4_S6_S9_PS7_SA_S4_S4_S6_S9_SB_SA_S9_SB_
; %bb.0:
	s_load_dword s33, s[4:5], 0x0
	v_lshrrev_b32_e32 v1, 1, v0
	s_lshl_b32 s34, s6, 10
	s_mov_b32 s0, exec_lo
	v_or_b32_e32 v1, s34, v1
	s_waitcnt lgkmcnt(0)
	v_cmpx_gt_i32_e64 s33, v1
	s_cbranch_execz .LBB1_40
; %bb.1:
	s_addk_i32 s34, 0x400
	v_cmp_gt_u32_e32 vcc_lo, s34, v1
	s_and_b32 exec_lo, exec_lo, vcc_lo
	s_cbranch_execz .LBB1_40
; %bb.2:
	s_clause 0x8
	s_load_dwordx4 s[36:39], s[4:5], 0x90
	s_load_dwordx8 s[8:15], s[4:5], 0x60
	s_load_dword s35, s[4:5], 0x28
	s_load_dwordx8 s[16:23], s[4:5], 0x30
	s_load_dwordx8 s[24:31], s[4:5], 0x8
	s_load_dwordx2 s[2:3], s[4:5], 0x50
	s_load_dword s40, s[4:5], 0x58
	s_load_dwordx2 s[6:7], s[4:5], 0x80
	s_load_dword s4, s[4:5], 0x88
	v_and_b32_e32 v0, 1, v0
	v_mov_b32_e32 v3, 0
	s_mov_b32 s5, 0
	s_waitcnt lgkmcnt(0)
	v_subrev_nc_u32_e32 v0, s35, v0
	s_branch .LBB1_4
.LBB1_3:                                ;   in Loop: Header=BB1_4 Depth=1
	s_or_b32 exec_lo, exec_lo, s41
	v_add_nc_u32_e32 v1, 0x200, v1
	v_cmp_le_u32_e32 vcc_lo, s34, v1
	s_or_b32 s5, vcc_lo, s5
	s_andn2_b32 exec_lo, exec_lo, s5
	s_cbranch_execz .LBB1_40
.LBB1_4:                                ; =>This Loop Header: Depth=1
                                        ;     Child Loop BB1_8 Depth 2
                                        ;       Child Loop BB1_12 Depth 3
                                        ;       Child Loop BB1_26 Depth 3
	;; [unrolled: 1-line block ×3, first 2 shown]
	s_mov_b32 s41, exec_lo
	v_cmpx_gt_i32_e64 s33, v1
	s_cbranch_execz .LBB1_3
; %bb.5:                                ;   in Loop: Header=BB1_4 Depth=1
	v_ashrrev_i32_e32 v2, 31, v1
	v_lshlrev_b64 v[5:6], 2, v[1:2]
	v_add_co_u32 v7, vcc_lo, s24, v5
	v_add_co_ci_u32_e64 v8, null, s25, v6, vcc_lo
	v_add_co_u32 v9, vcc_lo, s26, v5
	v_add_co_ci_u32_e64 v10, null, s27, v6, vcc_lo
	global_load_dword v2, v[7:8], off
	global_load_dword v7, v[9:10], off
	s_waitcnt vmcnt(1)
	v_add_nc_u32_e32 v4, v0, v2
	s_waitcnt vmcnt(0)
	v_subrev_nc_u32_e32 v19, s35, v7
	v_cmp_lt_i32_e32 vcc_lo, v4, v19
	s_and_b32 exec_lo, exec_lo, vcc_lo
	s_cbranch_execz .LBB1_3
; %bb.6:                                ;   in Loop: Header=BB1_4 Depth=1
	v_add_co_u32 v7, vcc_lo, s16, v5
	v_add_co_ci_u32_e64 v8, null, s17, v6, vcc_lo
	v_add_co_u32 v5, vcc_lo, s18, v5
	v_add_co_ci_u32_e64 v6, null, s19, v6, vcc_lo
	global_load_dword v2, v[7:8], off
	s_mov_b32 s42, 0
	global_load_dword v5, v[5:6], off
	s_waitcnt vmcnt(1)
	v_subrev_nc_u32_e32 v6, s40, v2
	s_waitcnt vmcnt(0)
	v_sub_nc_u32_e32 v20, v5, v2
	v_ashrrev_i32_e32 v7, 31, v6
	v_cmp_lt_i32_e64 s0, 0, v20
	v_lshlrev_b64 v[7:8], 2, v[6:7]
	v_add_co_u32 v21, vcc_lo, s20, v7
	v_add_co_ci_u32_e64 v22, null, s21, v8, vcc_lo
	v_add_co_u32 v23, vcc_lo, s22, v7
	v_add_co_ci_u32_e64 v24, null, s23, v8, vcc_lo
	s_branch .LBB1_8
.LBB1_7:                                ;   in Loop: Header=BB1_8 Depth=2
	s_or_b32 exec_lo, exec_lo, s43
	v_add_nc_u32_e32 v4, 2, v4
	v_cmp_ge_i32_e32 vcc_lo, v4, v19
	s_or_b32 s42, vcc_lo, s42
	s_andn2_b32 exec_lo, exec_lo, s42
	s_cbranch_execz .LBB1_3
.LBB1_8:                                ;   Parent Loop BB1_4 Depth=1
                                        ; =>  This Loop Header: Depth=2
                                        ;       Child Loop BB1_12 Depth 3
                                        ;       Child Loop BB1_26 Depth 3
	;; [unrolled: 1-line block ×3, first 2 shown]
	v_ashrrev_i32_e32 v5, 31, v4
	v_mov_b32_e32 v25, 0
	v_lshlrev_b64 v[13:14], 2, v[4:5]
	v_add_co_u32 v7, vcc_lo, s28, v13
	v_add_co_ci_u32_e64 v8, null, s29, v14, vcc_lo
	global_load_dword v2, v[7:8], off
	s_waitcnt vmcnt(0)
	v_subrev_nc_u32_e32 v7, s35, v2
	v_ashrrev_i32_e32 v8, 31, v7
	v_lshlrev_b64 v[11:12], 2, v[7:8]
	v_add_co_u32 v8, vcc_lo, s8, v11
	v_add_co_ci_u32_e64 v9, null, s9, v12, vcc_lo
	v_add_co_u32 v15, vcc_lo, s10, v11
	v_add_co_ci_u32_e64 v16, null, s11, v12, vcc_lo
	global_load_dword v2, v[8:9], off
	global_load_dword v5, v[15:16], off
	v_mov_b32_e32 v9, 0
	s_waitcnt vmcnt(1)
	v_subrev_nc_u32_e32 v8, s4, v2
	s_waitcnt vmcnt(0)
	v_sub_nc_u32_e32 v5, v5, v2
	v_mov_b32_e32 v2, v9
	s_and_saveexec_b32 s43, s0
	s_cbranch_execz .LBB1_16
; %bb.9:                                ;   in Loop: Header=BB1_8 Depth=2
	v_ashrrev_i32_e32 v9, 31, v8
	v_mov_b32_e32 v25, 0
	v_mov_b32_e32 v2, 0
	s_mov_b32 s44, 0
                                        ; implicit-def: $sgpr45
	v_lshlrev_b64 v[9:10], 2, v[8:9]
	v_add_co_u32 v26, vcc_lo, s12, v9
	v_add_co_ci_u32_e64 v27, null, s13, v10, vcc_lo
	v_add_co_u32 v28, vcc_lo, s14, v9
	v_add_co_ci_u32_e64 v29, null, s15, v10, vcc_lo
	v_mov_b32_e32 v9, 0
	s_branch .LBB1_12
.LBB1_10:                               ;   in Loop: Header=BB1_12 Depth=3
	s_or_b32 exec_lo, exec_lo, s1
	v_cmp_le_i32_e32 vcc_lo, v10, v30
	v_cmp_ge_i32_e64 s1, v10, v30
	v_add_co_ci_u32_e64 v2, null, 0, v2, vcc_lo
	v_add_co_ci_u32_e64 v9, null, 0, v9, s1
	s_andn2_b32 s1, s45, exec_lo
	v_cmp_ge_i32_e32 vcc_lo, v2, v20
	s_and_b32 s45, vcc_lo, exec_lo
	s_or_b32 s45, s1, s45
.LBB1_11:                               ;   in Loop: Header=BB1_12 Depth=3
	s_or_b32 exec_lo, exec_lo, s46
	s_and_b32 s1, exec_lo, s45
	s_or_b32 s44, s1, s44
	s_andn2_b32 exec_lo, exec_lo, s44
	s_cbranch_execz .LBB1_15
.LBB1_12:                               ;   Parent Loop BB1_4 Depth=1
                                        ;     Parent Loop BB1_8 Depth=2
                                        ; =>    This Inner Loop Header: Depth=3
	s_or_b32 s45, s45, exec_lo
	s_mov_b32 s46, exec_lo
	v_cmpx_lt_i32_e64 v9, v5
	s_cbranch_execz .LBB1_11
; %bb.13:                               ;   in Loop: Header=BB1_12 Depth=3
	v_mov_b32_e32 v10, v3
	v_lshlrev_b64 v[17:18], 2, v[2:3]
	s_mov_b32 s1, exec_lo
	v_lshlrev_b64 v[15:16], 2, v[9:10]
	v_add_co_u32 v30, vcc_lo, v21, v17
	v_add_co_ci_u32_e64 v31, null, v22, v18, vcc_lo
	v_add_co_u32 v32, vcc_lo, v26, v15
	v_add_co_ci_u32_e64 v33, null, v27, v16, vcc_lo
	global_load_dword v10, v[30:31], off
	global_load_dword v30, v[32:33], off
	s_waitcnt vmcnt(1)
	v_subrev_nc_u32_e32 v10, s40, v10
	s_waitcnt vmcnt(0)
	v_subrev_nc_u32_e32 v30, s4, v30
	v_cmpx_eq_u32_e64 v10, v30
	s_cbranch_execz .LBB1_10
; %bb.14:                               ;   in Loop: Header=BB1_12 Depth=3
	v_add_co_u32 v17, vcc_lo, v23, v17
	v_add_co_ci_u32_e64 v18, null, v24, v18, vcc_lo
	v_add_co_u32 v15, vcc_lo, v28, v15
	v_add_co_ci_u32_e64 v16, null, v29, v16, vcc_lo
	global_load_dword v17, v[17:18], off
	global_load_dword v15, v[15:16], off
	s_waitcnt vmcnt(0)
	v_fmac_f32_e32 v25, v17, v15
	s_branch .LBB1_10
.LBB1_15:                               ;   in Loop: Header=BB1_8 Depth=2
	s_or_b32 exec_lo, exec_lo, s44
.LBB1_16:                               ;   in Loop: Header=BB1_8 Depth=2
	s_or_b32 exec_lo, exec_lo, s43
	v_add_co_u32 v13, vcc_lo, s30, v13
	v_add_co_ci_u32_e64 v14, null, s31, v14, vcc_lo
	v_cmp_le_i32_e64 s1, v1, v7
	s_mov_b32 s43, exec_lo
	global_load_dword v10, v[13:14], off
	s_waitcnt vmcnt(0)
	v_sub_f32_e32 v13, v10, v25
	v_cmpx_gt_i32_e64 v1, v7
	s_cbranch_execz .LBB1_18
; %bb.17:                               ;   in Loop: Header=BB1_8 Depth=2
	v_add_co_u32 v14, vcc_lo, s36, v11
	v_add_co_ci_u32_e64 v15, null, s37, v12, vcc_lo
	global_load_dword v10, v[14:15], off
	s_waitcnt vmcnt(0)
	v_div_scale_f32 v14, null, v10, v10, v13
	v_rcp_f32_e32 v15, v14
	v_fma_f32 v16, -v14, v15, 1.0
	v_fmac_f32_e32 v15, v16, v15
	v_div_scale_f32 v16, vcc_lo, v13, v10, v13
	v_mul_f32_e32 v17, v16, v15
	v_fma_f32 v18, -v14, v17, v16
	v_fmac_f32_e32 v17, v18, v15
	v_fma_f32 v14, -v14, v17, v16
	v_div_fmas_f32 v14, v14, v15, v17
	v_div_fixup_f32 v13, v14, v10, v13
.LBB1_18:                               ;   in Loop: Header=BB1_8 Depth=2
	s_or_b32 exec_lo, exec_lo, s43
	v_cmp_class_f32_e64 s44, v13, 0x1f8
	s_and_saveexec_b32 s43, s44
	s_cbranch_execz .LBB1_7
; %bb.19:                               ;   in Loop: Header=BB1_8 Depth=2
	s_and_saveexec_b32 s44, s1
	s_xor_b32 s1, exec_lo, s44
	s_cbranch_execz .LBB1_32
; %bb.20:                               ;   in Loop: Header=BB1_8 Depth=2
	s_mov_b32 s44, exec_lo
	v_cmpx_ge_i32_e64 v1, v7
	s_xor_b32 s44, exec_lo, s44
	s_cbranch_execz .LBB1_22
; %bb.21:                               ;   in Loop: Header=BB1_8 Depth=2
	v_add_co_u32 v7, vcc_lo, s38, v11
	v_add_co_ci_u32_e64 v8, null, s39, v12, vcc_lo
                                        ; implicit-def: $vgpr9
                                        ; implicit-def: $vgpr5
	global_store_dword v[7:8], v13, off
                                        ; implicit-def: $vgpr13
                                        ; implicit-def: $vgpr8
.LBB1_22:                               ;   in Loop: Header=BB1_8 Depth=2
	s_andn2_saveexec_b32 s44, s44
	s_cbranch_execz .LBB1_31
; %bb.23:                               ;   in Loop: Header=BB1_8 Depth=2
	s_mov_b32 s45, exec_lo
	v_cmpx_lt_i32_e64 v9, v5
	s_cbranch_execz .LBB1_30
; %bb.24:                               ;   in Loop: Header=BB1_8 Depth=2
	s_mov_b32 s46, 0
                                        ; implicit-def: $sgpr47
                                        ; implicit-def: $sgpr49
                                        ; implicit-def: $sgpr48
	s_inst_prefetch 0x1
	s_branch .LBB1_26
	.p2align	6
.LBB1_25:                               ;   in Loop: Header=BB1_26 Depth=3
	s_or_b32 exec_lo, exec_lo, s50
	s_and_b32 s50, exec_lo, s49
	s_or_b32 s46, s50, s46
	s_andn2_b32 s47, s47, exec_lo
	s_and_b32 s50, s48, exec_lo
	s_or_b32 s47, s47, s50
	s_andn2_b32 exec_lo, exec_lo, s46
	s_cbranch_execz .LBB1_28
.LBB1_26:                               ;   Parent Loop BB1_4 Depth=1
                                        ;     Parent Loop BB1_8 Depth=2
                                        ; =>    This Inner Loop Header: Depth=3
	v_add_nc_u32_e32 v10, v8, v9
	s_or_b32 s48, s48, exec_lo
	s_or_b32 s49, s49, exec_lo
	s_mov_b32 s50, exec_lo
	v_ashrrev_i32_e32 v11, 31, v10
	v_lshlrev_b64 v[10:11], 2, v[10:11]
	v_add_co_u32 v14, vcc_lo, s12, v10
	v_add_co_ci_u32_e64 v15, null, s13, v11, vcc_lo
	global_load_dword v2, v[14:15], off
	s_waitcnt vmcnt(0)
	v_subrev_nc_u32_e32 v2, s4, v2
	v_cmpx_ne_u32_e64 v2, v1
	s_cbranch_execz .LBB1_25
; %bb.27:                               ;   in Loop: Header=BB1_26 Depth=3
	v_add_nc_u32_e32 v9, 1, v9
	s_andn2_b32 s49, s49, exec_lo
	s_andn2_b32 s48, s48, exec_lo
	v_cmp_ge_i32_e32 vcc_lo, v9, v5
	s_and_b32 s51, vcc_lo, exec_lo
	s_or_b32 s49, s49, s51
	s_branch .LBB1_25
.LBB1_28:                               ;   in Loop: Header=BB1_8 Depth=2
	s_inst_prefetch 0x2
	s_or_b32 exec_lo, exec_lo, s46
	s_and_saveexec_b32 s46, s47
	s_xor_b32 s46, exec_lo, s46
	s_cbranch_execz .LBB1_30
; %bb.29:                               ;   in Loop: Header=BB1_8 Depth=2
	v_add_co_u32 v7, vcc_lo, s6, v10
	v_add_co_ci_u32_e64 v8, null, s7, v11, vcc_lo
	global_store_dword v[7:8], v13, off
.LBB1_30:                               ;   in Loop: Header=BB1_8 Depth=2
	s_or_b32 exec_lo, exec_lo, s45
.LBB1_31:                               ;   in Loop: Header=BB1_8 Depth=2
	s_or_b32 exec_lo, exec_lo, s44
                                        ; implicit-def: $vgpr13
                                        ; implicit-def: $vgpr7_vgpr8
.LBB1_32:                               ;   in Loop: Header=BB1_8 Depth=2
	s_andn2_saveexec_b32 s1, s1
	s_cbranch_execz .LBB1_7
; %bb.33:                               ;   in Loop: Header=BB1_8 Depth=2
	v_cmp_lt_i32_e32 vcc_lo, v2, v20
	s_and_b32 exec_lo, exec_lo, vcc_lo
	s_cbranch_execz .LBB1_7
; %bb.34:                               ;   in Loop: Header=BB1_8 Depth=2
	s_mov_b32 s1, 0
                                        ; implicit-def: $sgpr44
                                        ; implicit-def: $sgpr46
                                        ; implicit-def: $sgpr45
	s_inst_prefetch 0x1
	s_branch .LBB1_36
	.p2align	6
.LBB1_35:                               ;   in Loop: Header=BB1_36 Depth=3
	s_or_b32 exec_lo, exec_lo, s47
	s_and_b32 s47, exec_lo, s46
	s_or_b32 s1, s47, s1
	s_andn2_b32 s44, s44, exec_lo
	s_and_b32 s47, s45, exec_lo
	s_or_b32 s44, s44, s47
	s_andn2_b32 exec_lo, exec_lo, s1
	s_cbranch_execz .LBB1_38
.LBB1_36:                               ;   Parent Loop BB1_4 Depth=1
                                        ;     Parent Loop BB1_8 Depth=2
                                        ; =>    This Inner Loop Header: Depth=3
	v_add_nc_u32_e32 v8, v6, v2
	s_or_b32 s45, s45, exec_lo
	s_or_b32 s46, s46, exec_lo
	s_mov_b32 s47, exec_lo
	v_ashrrev_i32_e32 v9, 31, v8
	v_lshlrev_b64 v[8:9], 2, v[8:9]
	v_add_co_u32 v10, vcc_lo, s20, v8
	v_add_co_ci_u32_e64 v11, null, s21, v9, vcc_lo
	global_load_dword v5, v[10:11], off
	s_waitcnt vmcnt(0)
	v_subrev_nc_u32_e32 v5, s40, v5
	v_cmpx_ne_u32_e64 v5, v7
	s_cbranch_execz .LBB1_35
; %bb.37:                               ;   in Loop: Header=BB1_36 Depth=3
	v_add_nc_u32_e32 v2, 1, v2
	s_andn2_b32 s46, s46, exec_lo
	s_andn2_b32 s45, s45, exec_lo
	v_cmp_ge_i32_e32 vcc_lo, v2, v20
	s_and_b32 s48, vcc_lo, exec_lo
	s_or_b32 s46, s46, s48
	s_branch .LBB1_35
.LBB1_38:                               ;   in Loop: Header=BB1_8 Depth=2
	s_inst_prefetch 0x2
	s_or_b32 exec_lo, exec_lo, s1
	s_and_saveexec_b32 s1, s44
	s_xor_b32 s1, exec_lo, s1
	s_cbranch_execz .LBB1_7
; %bb.39:                               ;   in Loop: Header=BB1_8 Depth=2
	v_add_co_u32 v7, vcc_lo, s2, v8
	v_add_co_ci_u32_e64 v8, null, s3, v9, vcc_lo
	global_store_dword v[7:8], v13, off
	s_branch .LBB1_7
.LBB1_40:
	s_endpgm
	.section	.rodata,"a",@progbits
	.p2align	6, 0x0
	.amdhsa_kernel _ZN9rocsparseL17kernel_correctionILi1024ELi2EfiiEEvT3_T2_PKS2_S4_PKS1_PKT1_21rocsparse_index_base_S4_S4_S6_S9_PS7_SA_S4_S4_S6_S9_SB_SA_S9_SB_
		.amdhsa_group_segment_fixed_size 0
		.amdhsa_private_segment_fixed_size 0
		.amdhsa_kernarg_size 160
		.amdhsa_user_sgpr_count 6
		.amdhsa_user_sgpr_private_segment_buffer 1
		.amdhsa_user_sgpr_dispatch_ptr 0
		.amdhsa_user_sgpr_queue_ptr 0
		.amdhsa_user_sgpr_kernarg_segment_ptr 1
		.amdhsa_user_sgpr_dispatch_id 0
		.amdhsa_user_sgpr_flat_scratch_init 0
		.amdhsa_user_sgpr_private_segment_size 0
		.amdhsa_wavefront_size32 1
		.amdhsa_uses_dynamic_stack 0
		.amdhsa_system_sgpr_private_segment_wavefront_offset 0
		.amdhsa_system_sgpr_workgroup_id_x 1
		.amdhsa_system_sgpr_workgroup_id_y 0
		.amdhsa_system_sgpr_workgroup_id_z 0
		.amdhsa_system_sgpr_workgroup_info 0
		.amdhsa_system_vgpr_workitem_id 0
		.amdhsa_next_free_vgpr 34
		.amdhsa_next_free_sgpr 52
		.amdhsa_reserve_vcc 1
		.amdhsa_reserve_flat_scratch 0
		.amdhsa_float_round_mode_32 0
		.amdhsa_float_round_mode_16_64 0
		.amdhsa_float_denorm_mode_32 3
		.amdhsa_float_denorm_mode_16_64 3
		.amdhsa_dx10_clamp 1
		.amdhsa_ieee_mode 1
		.amdhsa_fp16_overflow 0
		.amdhsa_workgroup_processor_mode 1
		.amdhsa_memory_ordered 1
		.amdhsa_forward_progress 1
		.amdhsa_shared_vgpr_count 0
		.amdhsa_exception_fp_ieee_invalid_op 0
		.amdhsa_exception_fp_denorm_src 0
		.amdhsa_exception_fp_ieee_div_zero 0
		.amdhsa_exception_fp_ieee_overflow 0
		.amdhsa_exception_fp_ieee_underflow 0
		.amdhsa_exception_fp_ieee_inexact 0
		.amdhsa_exception_int_div_zero 0
	.end_amdhsa_kernel
	.section	.text._ZN9rocsparseL17kernel_correctionILi1024ELi2EfiiEEvT3_T2_PKS2_S4_PKS1_PKT1_21rocsparse_index_base_S4_S4_S6_S9_PS7_SA_S4_S4_S6_S9_SB_SA_S9_SB_,"axG",@progbits,_ZN9rocsparseL17kernel_correctionILi1024ELi2EfiiEEvT3_T2_PKS2_S4_PKS1_PKT1_21rocsparse_index_base_S4_S4_S6_S9_PS7_SA_S4_S4_S6_S9_SB_SA_S9_SB_,comdat
.Lfunc_end1:
	.size	_ZN9rocsparseL17kernel_correctionILi1024ELi2EfiiEEvT3_T2_PKS2_S4_PKS1_PKT1_21rocsparse_index_base_S4_S4_S6_S9_PS7_SA_S4_S4_S6_S9_SB_SA_S9_SB_, .Lfunc_end1-_ZN9rocsparseL17kernel_correctionILi1024ELi2EfiiEEvT3_T2_PKS2_S4_PKS1_PKT1_21rocsparse_index_base_S4_S4_S6_S9_PS7_SA_S4_S4_S6_S9_SB_SA_S9_SB_
                                        ; -- End function
	.set _ZN9rocsparseL17kernel_correctionILi1024ELi2EfiiEEvT3_T2_PKS2_S4_PKS1_PKT1_21rocsparse_index_base_S4_S4_S6_S9_PS7_SA_S4_S4_S6_S9_SB_SA_S9_SB_.num_vgpr, 34
	.set _ZN9rocsparseL17kernel_correctionILi1024ELi2EfiiEEvT3_T2_PKS2_S4_PKS1_PKT1_21rocsparse_index_base_S4_S4_S6_S9_PS7_SA_S4_S4_S6_S9_SB_SA_S9_SB_.num_agpr, 0
	.set _ZN9rocsparseL17kernel_correctionILi1024ELi2EfiiEEvT3_T2_PKS2_S4_PKS1_PKT1_21rocsparse_index_base_S4_S4_S6_S9_PS7_SA_S4_S4_S6_S9_SB_SA_S9_SB_.numbered_sgpr, 52
	.set _ZN9rocsparseL17kernel_correctionILi1024ELi2EfiiEEvT3_T2_PKS2_S4_PKS1_PKT1_21rocsparse_index_base_S4_S4_S6_S9_PS7_SA_S4_S4_S6_S9_SB_SA_S9_SB_.num_named_barrier, 0
	.set _ZN9rocsparseL17kernel_correctionILi1024ELi2EfiiEEvT3_T2_PKS2_S4_PKS1_PKT1_21rocsparse_index_base_S4_S4_S6_S9_PS7_SA_S4_S4_S6_S9_SB_SA_S9_SB_.private_seg_size, 0
	.set _ZN9rocsparseL17kernel_correctionILi1024ELi2EfiiEEvT3_T2_PKS2_S4_PKS1_PKT1_21rocsparse_index_base_S4_S4_S6_S9_PS7_SA_S4_S4_S6_S9_SB_SA_S9_SB_.uses_vcc, 1
	.set _ZN9rocsparseL17kernel_correctionILi1024ELi2EfiiEEvT3_T2_PKS2_S4_PKS1_PKT1_21rocsparse_index_base_S4_S4_S6_S9_PS7_SA_S4_S4_S6_S9_SB_SA_S9_SB_.uses_flat_scratch, 0
	.set _ZN9rocsparseL17kernel_correctionILi1024ELi2EfiiEEvT3_T2_PKS2_S4_PKS1_PKT1_21rocsparse_index_base_S4_S4_S6_S9_PS7_SA_S4_S4_S6_S9_SB_SA_S9_SB_.has_dyn_sized_stack, 0
	.set _ZN9rocsparseL17kernel_correctionILi1024ELi2EfiiEEvT3_T2_PKS2_S4_PKS1_PKT1_21rocsparse_index_base_S4_S4_S6_S9_PS7_SA_S4_S4_S6_S9_SB_SA_S9_SB_.has_recursion, 0
	.set _ZN9rocsparseL17kernel_correctionILi1024ELi2EfiiEEvT3_T2_PKS2_S4_PKS1_PKT1_21rocsparse_index_base_S4_S4_S6_S9_PS7_SA_S4_S4_S6_S9_SB_SA_S9_SB_.has_indirect_call, 0
	.section	.AMDGPU.csdata,"",@progbits
; Kernel info:
; codeLenInByte = 1656
; TotalNumSgprs: 54
; NumVgprs: 34
; ScratchSize: 0
; MemoryBound: 0
; FloatMode: 240
; IeeeMode: 1
; LDSByteSize: 0 bytes/workgroup (compile time only)
; SGPRBlocks: 0
; VGPRBlocks: 4
; NumSGPRsForWavesPerEU: 54
; NumVGPRsForWavesPerEU: 34
; Occupancy: 16
; WaveLimiterHint : 1
; COMPUTE_PGM_RSRC2:SCRATCH_EN: 0
; COMPUTE_PGM_RSRC2:USER_SGPR: 6
; COMPUTE_PGM_RSRC2:TRAP_HANDLER: 0
; COMPUTE_PGM_RSRC2:TGID_X_EN: 1
; COMPUTE_PGM_RSRC2:TGID_Y_EN: 0
; COMPUTE_PGM_RSRC2:TGID_Z_EN: 0
; COMPUTE_PGM_RSRC2:TIDIG_COMP_CNT: 0
	.section	.text._ZN9rocsparseL17kernel_correctionILi1024ELi4EfiiEEvT3_T2_PKS2_S4_PKS1_PKT1_21rocsparse_index_base_S4_S4_S6_S9_PS7_SA_S4_S4_S6_S9_SB_SA_S9_SB_,"axG",@progbits,_ZN9rocsparseL17kernel_correctionILi1024ELi4EfiiEEvT3_T2_PKS2_S4_PKS1_PKT1_21rocsparse_index_base_S4_S4_S6_S9_PS7_SA_S4_S4_S6_S9_SB_SA_S9_SB_,comdat
	.globl	_ZN9rocsparseL17kernel_correctionILi1024ELi4EfiiEEvT3_T2_PKS2_S4_PKS1_PKT1_21rocsparse_index_base_S4_S4_S6_S9_PS7_SA_S4_S4_S6_S9_SB_SA_S9_SB_ ; -- Begin function _ZN9rocsparseL17kernel_correctionILi1024ELi4EfiiEEvT3_T2_PKS2_S4_PKS1_PKT1_21rocsparse_index_base_S4_S4_S6_S9_PS7_SA_S4_S4_S6_S9_SB_SA_S9_SB_
	.p2align	8
	.type	_ZN9rocsparseL17kernel_correctionILi1024ELi4EfiiEEvT3_T2_PKS2_S4_PKS1_PKT1_21rocsparse_index_base_S4_S4_S6_S9_PS7_SA_S4_S4_S6_S9_SB_SA_S9_SB_,@function
_ZN9rocsparseL17kernel_correctionILi1024ELi4EfiiEEvT3_T2_PKS2_S4_PKS1_PKT1_21rocsparse_index_base_S4_S4_S6_S9_PS7_SA_S4_S4_S6_S9_SB_SA_S9_SB_: ; @_ZN9rocsparseL17kernel_correctionILi1024ELi4EfiiEEvT3_T2_PKS2_S4_PKS1_PKT1_21rocsparse_index_base_S4_S4_S6_S9_PS7_SA_S4_S4_S6_S9_SB_SA_S9_SB_
; %bb.0:
	s_load_dword s33, s[4:5], 0x0
	v_lshrrev_b32_e32 v1, 2, v0
	s_lshl_b32 s34, s6, 10
	s_mov_b32 s0, exec_lo
	v_or_b32_e32 v1, s34, v1
	s_waitcnt lgkmcnt(0)
	v_cmpx_gt_i32_e64 s33, v1
	s_cbranch_execz .LBB2_40
; %bb.1:
	s_addk_i32 s34, 0x400
	v_cmp_gt_u32_e32 vcc_lo, s34, v1
	s_and_b32 exec_lo, exec_lo, vcc_lo
	s_cbranch_execz .LBB2_40
; %bb.2:
	s_clause 0x8
	s_load_dwordx4 s[36:39], s[4:5], 0x90
	s_load_dwordx8 s[8:15], s[4:5], 0x60
	s_load_dword s35, s[4:5], 0x28
	s_load_dwordx8 s[16:23], s[4:5], 0x30
	s_load_dwordx8 s[24:31], s[4:5], 0x8
	s_load_dwordx2 s[2:3], s[4:5], 0x50
	s_load_dword s40, s[4:5], 0x58
	s_load_dwordx2 s[6:7], s[4:5], 0x80
	s_load_dword s4, s[4:5], 0x88
	v_and_b32_e32 v0, 3, v0
	v_mov_b32_e32 v3, 0
	s_mov_b32 s5, 0
	s_waitcnt lgkmcnt(0)
	v_subrev_nc_u32_e32 v0, s35, v0
	s_branch .LBB2_4
.LBB2_3:                                ;   in Loop: Header=BB2_4 Depth=1
	s_or_b32 exec_lo, exec_lo, s41
	v_add_nc_u32_e32 v1, 0x100, v1
	v_cmp_le_u32_e32 vcc_lo, s34, v1
	s_or_b32 s5, vcc_lo, s5
	s_andn2_b32 exec_lo, exec_lo, s5
	s_cbranch_execz .LBB2_40
.LBB2_4:                                ; =>This Loop Header: Depth=1
                                        ;     Child Loop BB2_8 Depth 2
                                        ;       Child Loop BB2_12 Depth 3
                                        ;       Child Loop BB2_26 Depth 3
	;; [unrolled: 1-line block ×3, first 2 shown]
	s_mov_b32 s41, exec_lo
	v_cmpx_gt_i32_e64 s33, v1
	s_cbranch_execz .LBB2_3
; %bb.5:                                ;   in Loop: Header=BB2_4 Depth=1
	v_ashrrev_i32_e32 v2, 31, v1
	v_lshlrev_b64 v[5:6], 2, v[1:2]
	v_add_co_u32 v7, vcc_lo, s24, v5
	v_add_co_ci_u32_e64 v8, null, s25, v6, vcc_lo
	v_add_co_u32 v9, vcc_lo, s26, v5
	v_add_co_ci_u32_e64 v10, null, s27, v6, vcc_lo
	global_load_dword v2, v[7:8], off
	global_load_dword v7, v[9:10], off
	s_waitcnt vmcnt(1)
	v_add_nc_u32_e32 v4, v0, v2
	s_waitcnt vmcnt(0)
	v_subrev_nc_u32_e32 v19, s35, v7
	v_cmp_lt_i32_e32 vcc_lo, v4, v19
	s_and_b32 exec_lo, exec_lo, vcc_lo
	s_cbranch_execz .LBB2_3
; %bb.6:                                ;   in Loop: Header=BB2_4 Depth=1
	v_add_co_u32 v7, vcc_lo, s16, v5
	v_add_co_ci_u32_e64 v8, null, s17, v6, vcc_lo
	v_add_co_u32 v5, vcc_lo, s18, v5
	v_add_co_ci_u32_e64 v6, null, s19, v6, vcc_lo
	global_load_dword v2, v[7:8], off
	s_mov_b32 s42, 0
	global_load_dword v5, v[5:6], off
	s_waitcnt vmcnt(1)
	v_subrev_nc_u32_e32 v6, s40, v2
	s_waitcnt vmcnt(0)
	v_sub_nc_u32_e32 v20, v5, v2
	v_ashrrev_i32_e32 v7, 31, v6
	v_cmp_lt_i32_e64 s0, 0, v20
	v_lshlrev_b64 v[7:8], 2, v[6:7]
	v_add_co_u32 v21, vcc_lo, s20, v7
	v_add_co_ci_u32_e64 v22, null, s21, v8, vcc_lo
	v_add_co_u32 v23, vcc_lo, s22, v7
	v_add_co_ci_u32_e64 v24, null, s23, v8, vcc_lo
	s_branch .LBB2_8
.LBB2_7:                                ;   in Loop: Header=BB2_8 Depth=2
	s_or_b32 exec_lo, exec_lo, s43
	v_add_nc_u32_e32 v4, 4, v4
	v_cmp_ge_i32_e32 vcc_lo, v4, v19
	s_or_b32 s42, vcc_lo, s42
	s_andn2_b32 exec_lo, exec_lo, s42
	s_cbranch_execz .LBB2_3
.LBB2_8:                                ;   Parent Loop BB2_4 Depth=1
                                        ; =>  This Loop Header: Depth=2
                                        ;       Child Loop BB2_12 Depth 3
                                        ;       Child Loop BB2_26 Depth 3
	;; [unrolled: 1-line block ×3, first 2 shown]
	v_ashrrev_i32_e32 v5, 31, v4
	v_mov_b32_e32 v25, 0
	v_lshlrev_b64 v[13:14], 2, v[4:5]
	v_add_co_u32 v7, vcc_lo, s28, v13
	v_add_co_ci_u32_e64 v8, null, s29, v14, vcc_lo
	global_load_dword v2, v[7:8], off
	s_waitcnt vmcnt(0)
	v_subrev_nc_u32_e32 v7, s35, v2
	v_ashrrev_i32_e32 v8, 31, v7
	v_lshlrev_b64 v[11:12], 2, v[7:8]
	v_add_co_u32 v8, vcc_lo, s8, v11
	v_add_co_ci_u32_e64 v9, null, s9, v12, vcc_lo
	v_add_co_u32 v15, vcc_lo, s10, v11
	v_add_co_ci_u32_e64 v16, null, s11, v12, vcc_lo
	global_load_dword v2, v[8:9], off
	global_load_dword v5, v[15:16], off
	v_mov_b32_e32 v9, 0
	s_waitcnt vmcnt(1)
	v_subrev_nc_u32_e32 v8, s4, v2
	s_waitcnt vmcnt(0)
	v_sub_nc_u32_e32 v5, v5, v2
	v_mov_b32_e32 v2, v9
	s_and_saveexec_b32 s43, s0
	s_cbranch_execz .LBB2_16
; %bb.9:                                ;   in Loop: Header=BB2_8 Depth=2
	v_ashrrev_i32_e32 v9, 31, v8
	v_mov_b32_e32 v25, 0
	v_mov_b32_e32 v2, 0
	s_mov_b32 s44, 0
                                        ; implicit-def: $sgpr45
	v_lshlrev_b64 v[9:10], 2, v[8:9]
	v_add_co_u32 v26, vcc_lo, s12, v9
	v_add_co_ci_u32_e64 v27, null, s13, v10, vcc_lo
	v_add_co_u32 v28, vcc_lo, s14, v9
	v_add_co_ci_u32_e64 v29, null, s15, v10, vcc_lo
	v_mov_b32_e32 v9, 0
	s_branch .LBB2_12
.LBB2_10:                               ;   in Loop: Header=BB2_12 Depth=3
	s_or_b32 exec_lo, exec_lo, s1
	v_cmp_le_i32_e32 vcc_lo, v10, v30
	v_cmp_ge_i32_e64 s1, v10, v30
	v_add_co_ci_u32_e64 v2, null, 0, v2, vcc_lo
	v_add_co_ci_u32_e64 v9, null, 0, v9, s1
	s_andn2_b32 s1, s45, exec_lo
	v_cmp_ge_i32_e32 vcc_lo, v2, v20
	s_and_b32 s45, vcc_lo, exec_lo
	s_or_b32 s45, s1, s45
.LBB2_11:                               ;   in Loop: Header=BB2_12 Depth=3
	s_or_b32 exec_lo, exec_lo, s46
	s_and_b32 s1, exec_lo, s45
	s_or_b32 s44, s1, s44
	s_andn2_b32 exec_lo, exec_lo, s44
	s_cbranch_execz .LBB2_15
.LBB2_12:                               ;   Parent Loop BB2_4 Depth=1
                                        ;     Parent Loop BB2_8 Depth=2
                                        ; =>    This Inner Loop Header: Depth=3
	s_or_b32 s45, s45, exec_lo
	s_mov_b32 s46, exec_lo
	v_cmpx_lt_i32_e64 v9, v5
	s_cbranch_execz .LBB2_11
; %bb.13:                               ;   in Loop: Header=BB2_12 Depth=3
	v_mov_b32_e32 v10, v3
	v_lshlrev_b64 v[17:18], 2, v[2:3]
	s_mov_b32 s1, exec_lo
	v_lshlrev_b64 v[15:16], 2, v[9:10]
	v_add_co_u32 v30, vcc_lo, v21, v17
	v_add_co_ci_u32_e64 v31, null, v22, v18, vcc_lo
	v_add_co_u32 v32, vcc_lo, v26, v15
	v_add_co_ci_u32_e64 v33, null, v27, v16, vcc_lo
	global_load_dword v10, v[30:31], off
	global_load_dword v30, v[32:33], off
	s_waitcnt vmcnt(1)
	v_subrev_nc_u32_e32 v10, s40, v10
	s_waitcnt vmcnt(0)
	v_subrev_nc_u32_e32 v30, s4, v30
	v_cmpx_eq_u32_e64 v10, v30
	s_cbranch_execz .LBB2_10
; %bb.14:                               ;   in Loop: Header=BB2_12 Depth=3
	v_add_co_u32 v17, vcc_lo, v23, v17
	v_add_co_ci_u32_e64 v18, null, v24, v18, vcc_lo
	v_add_co_u32 v15, vcc_lo, v28, v15
	v_add_co_ci_u32_e64 v16, null, v29, v16, vcc_lo
	global_load_dword v17, v[17:18], off
	global_load_dword v15, v[15:16], off
	s_waitcnt vmcnt(0)
	v_fmac_f32_e32 v25, v17, v15
	s_branch .LBB2_10
.LBB2_15:                               ;   in Loop: Header=BB2_8 Depth=2
	s_or_b32 exec_lo, exec_lo, s44
.LBB2_16:                               ;   in Loop: Header=BB2_8 Depth=2
	s_or_b32 exec_lo, exec_lo, s43
	v_add_co_u32 v13, vcc_lo, s30, v13
	v_add_co_ci_u32_e64 v14, null, s31, v14, vcc_lo
	v_cmp_le_i32_e64 s1, v1, v7
	s_mov_b32 s43, exec_lo
	global_load_dword v10, v[13:14], off
	s_waitcnt vmcnt(0)
	v_sub_f32_e32 v13, v10, v25
	v_cmpx_gt_i32_e64 v1, v7
	s_cbranch_execz .LBB2_18
; %bb.17:                               ;   in Loop: Header=BB2_8 Depth=2
	v_add_co_u32 v14, vcc_lo, s36, v11
	v_add_co_ci_u32_e64 v15, null, s37, v12, vcc_lo
	global_load_dword v10, v[14:15], off
	s_waitcnt vmcnt(0)
	v_div_scale_f32 v14, null, v10, v10, v13
	v_rcp_f32_e32 v15, v14
	v_fma_f32 v16, -v14, v15, 1.0
	v_fmac_f32_e32 v15, v16, v15
	v_div_scale_f32 v16, vcc_lo, v13, v10, v13
	v_mul_f32_e32 v17, v16, v15
	v_fma_f32 v18, -v14, v17, v16
	v_fmac_f32_e32 v17, v18, v15
	v_fma_f32 v14, -v14, v17, v16
	v_div_fmas_f32 v14, v14, v15, v17
	v_div_fixup_f32 v13, v14, v10, v13
.LBB2_18:                               ;   in Loop: Header=BB2_8 Depth=2
	s_or_b32 exec_lo, exec_lo, s43
	v_cmp_class_f32_e64 s44, v13, 0x1f8
	s_and_saveexec_b32 s43, s44
	s_cbranch_execz .LBB2_7
; %bb.19:                               ;   in Loop: Header=BB2_8 Depth=2
	s_and_saveexec_b32 s44, s1
	s_xor_b32 s1, exec_lo, s44
	s_cbranch_execz .LBB2_32
; %bb.20:                               ;   in Loop: Header=BB2_8 Depth=2
	s_mov_b32 s44, exec_lo
	v_cmpx_ge_i32_e64 v1, v7
	s_xor_b32 s44, exec_lo, s44
	s_cbranch_execz .LBB2_22
; %bb.21:                               ;   in Loop: Header=BB2_8 Depth=2
	v_add_co_u32 v7, vcc_lo, s38, v11
	v_add_co_ci_u32_e64 v8, null, s39, v12, vcc_lo
                                        ; implicit-def: $vgpr9
                                        ; implicit-def: $vgpr5
	global_store_dword v[7:8], v13, off
                                        ; implicit-def: $vgpr13
                                        ; implicit-def: $vgpr8
.LBB2_22:                               ;   in Loop: Header=BB2_8 Depth=2
	s_andn2_saveexec_b32 s44, s44
	s_cbranch_execz .LBB2_31
; %bb.23:                               ;   in Loop: Header=BB2_8 Depth=2
	s_mov_b32 s45, exec_lo
	v_cmpx_lt_i32_e64 v9, v5
	s_cbranch_execz .LBB2_30
; %bb.24:                               ;   in Loop: Header=BB2_8 Depth=2
	s_mov_b32 s46, 0
                                        ; implicit-def: $sgpr47
                                        ; implicit-def: $sgpr49
                                        ; implicit-def: $sgpr48
	s_inst_prefetch 0x1
	s_branch .LBB2_26
	.p2align	6
.LBB2_25:                               ;   in Loop: Header=BB2_26 Depth=3
	s_or_b32 exec_lo, exec_lo, s50
	s_and_b32 s50, exec_lo, s49
	s_or_b32 s46, s50, s46
	s_andn2_b32 s47, s47, exec_lo
	s_and_b32 s50, s48, exec_lo
	s_or_b32 s47, s47, s50
	s_andn2_b32 exec_lo, exec_lo, s46
	s_cbranch_execz .LBB2_28
.LBB2_26:                               ;   Parent Loop BB2_4 Depth=1
                                        ;     Parent Loop BB2_8 Depth=2
                                        ; =>    This Inner Loop Header: Depth=3
	v_add_nc_u32_e32 v10, v8, v9
	s_or_b32 s48, s48, exec_lo
	s_or_b32 s49, s49, exec_lo
	s_mov_b32 s50, exec_lo
	v_ashrrev_i32_e32 v11, 31, v10
	v_lshlrev_b64 v[10:11], 2, v[10:11]
	v_add_co_u32 v14, vcc_lo, s12, v10
	v_add_co_ci_u32_e64 v15, null, s13, v11, vcc_lo
	global_load_dword v2, v[14:15], off
	s_waitcnt vmcnt(0)
	v_subrev_nc_u32_e32 v2, s4, v2
	v_cmpx_ne_u32_e64 v2, v1
	s_cbranch_execz .LBB2_25
; %bb.27:                               ;   in Loop: Header=BB2_26 Depth=3
	v_add_nc_u32_e32 v9, 1, v9
	s_andn2_b32 s49, s49, exec_lo
	s_andn2_b32 s48, s48, exec_lo
	v_cmp_ge_i32_e32 vcc_lo, v9, v5
	s_and_b32 s51, vcc_lo, exec_lo
	s_or_b32 s49, s49, s51
	s_branch .LBB2_25
.LBB2_28:                               ;   in Loop: Header=BB2_8 Depth=2
	s_inst_prefetch 0x2
	s_or_b32 exec_lo, exec_lo, s46
	s_and_saveexec_b32 s46, s47
	s_xor_b32 s46, exec_lo, s46
	s_cbranch_execz .LBB2_30
; %bb.29:                               ;   in Loop: Header=BB2_8 Depth=2
	v_add_co_u32 v7, vcc_lo, s6, v10
	v_add_co_ci_u32_e64 v8, null, s7, v11, vcc_lo
	global_store_dword v[7:8], v13, off
.LBB2_30:                               ;   in Loop: Header=BB2_8 Depth=2
	s_or_b32 exec_lo, exec_lo, s45
.LBB2_31:                               ;   in Loop: Header=BB2_8 Depth=2
	s_or_b32 exec_lo, exec_lo, s44
                                        ; implicit-def: $vgpr13
                                        ; implicit-def: $vgpr7_vgpr8
.LBB2_32:                               ;   in Loop: Header=BB2_8 Depth=2
	s_andn2_saveexec_b32 s1, s1
	s_cbranch_execz .LBB2_7
; %bb.33:                               ;   in Loop: Header=BB2_8 Depth=2
	v_cmp_lt_i32_e32 vcc_lo, v2, v20
	s_and_b32 exec_lo, exec_lo, vcc_lo
	s_cbranch_execz .LBB2_7
; %bb.34:                               ;   in Loop: Header=BB2_8 Depth=2
	s_mov_b32 s1, 0
                                        ; implicit-def: $sgpr44
                                        ; implicit-def: $sgpr46
                                        ; implicit-def: $sgpr45
	s_inst_prefetch 0x1
	s_branch .LBB2_36
	.p2align	6
.LBB2_35:                               ;   in Loop: Header=BB2_36 Depth=3
	s_or_b32 exec_lo, exec_lo, s47
	s_and_b32 s47, exec_lo, s46
	s_or_b32 s1, s47, s1
	s_andn2_b32 s44, s44, exec_lo
	s_and_b32 s47, s45, exec_lo
	s_or_b32 s44, s44, s47
	s_andn2_b32 exec_lo, exec_lo, s1
	s_cbranch_execz .LBB2_38
.LBB2_36:                               ;   Parent Loop BB2_4 Depth=1
                                        ;     Parent Loop BB2_8 Depth=2
                                        ; =>    This Inner Loop Header: Depth=3
	v_add_nc_u32_e32 v8, v6, v2
	s_or_b32 s45, s45, exec_lo
	s_or_b32 s46, s46, exec_lo
	s_mov_b32 s47, exec_lo
	v_ashrrev_i32_e32 v9, 31, v8
	v_lshlrev_b64 v[8:9], 2, v[8:9]
	v_add_co_u32 v10, vcc_lo, s20, v8
	v_add_co_ci_u32_e64 v11, null, s21, v9, vcc_lo
	global_load_dword v5, v[10:11], off
	s_waitcnt vmcnt(0)
	v_subrev_nc_u32_e32 v5, s40, v5
	v_cmpx_ne_u32_e64 v5, v7
	s_cbranch_execz .LBB2_35
; %bb.37:                               ;   in Loop: Header=BB2_36 Depth=3
	v_add_nc_u32_e32 v2, 1, v2
	s_andn2_b32 s46, s46, exec_lo
	s_andn2_b32 s45, s45, exec_lo
	v_cmp_ge_i32_e32 vcc_lo, v2, v20
	s_and_b32 s48, vcc_lo, exec_lo
	s_or_b32 s46, s46, s48
	s_branch .LBB2_35
.LBB2_38:                               ;   in Loop: Header=BB2_8 Depth=2
	s_inst_prefetch 0x2
	s_or_b32 exec_lo, exec_lo, s1
	s_and_saveexec_b32 s1, s44
	s_xor_b32 s1, exec_lo, s1
	s_cbranch_execz .LBB2_7
; %bb.39:                               ;   in Loop: Header=BB2_8 Depth=2
	v_add_co_u32 v7, vcc_lo, s2, v8
	v_add_co_ci_u32_e64 v8, null, s3, v9, vcc_lo
	global_store_dword v[7:8], v13, off
	s_branch .LBB2_7
.LBB2_40:
	s_endpgm
	.section	.rodata,"a",@progbits
	.p2align	6, 0x0
	.amdhsa_kernel _ZN9rocsparseL17kernel_correctionILi1024ELi4EfiiEEvT3_T2_PKS2_S4_PKS1_PKT1_21rocsparse_index_base_S4_S4_S6_S9_PS7_SA_S4_S4_S6_S9_SB_SA_S9_SB_
		.amdhsa_group_segment_fixed_size 0
		.amdhsa_private_segment_fixed_size 0
		.amdhsa_kernarg_size 160
		.amdhsa_user_sgpr_count 6
		.amdhsa_user_sgpr_private_segment_buffer 1
		.amdhsa_user_sgpr_dispatch_ptr 0
		.amdhsa_user_sgpr_queue_ptr 0
		.amdhsa_user_sgpr_kernarg_segment_ptr 1
		.amdhsa_user_sgpr_dispatch_id 0
		.amdhsa_user_sgpr_flat_scratch_init 0
		.amdhsa_user_sgpr_private_segment_size 0
		.amdhsa_wavefront_size32 1
		.amdhsa_uses_dynamic_stack 0
		.amdhsa_system_sgpr_private_segment_wavefront_offset 0
		.amdhsa_system_sgpr_workgroup_id_x 1
		.amdhsa_system_sgpr_workgroup_id_y 0
		.amdhsa_system_sgpr_workgroup_id_z 0
		.amdhsa_system_sgpr_workgroup_info 0
		.amdhsa_system_vgpr_workitem_id 0
		.amdhsa_next_free_vgpr 34
		.amdhsa_next_free_sgpr 52
		.amdhsa_reserve_vcc 1
		.amdhsa_reserve_flat_scratch 0
		.amdhsa_float_round_mode_32 0
		.amdhsa_float_round_mode_16_64 0
		.amdhsa_float_denorm_mode_32 3
		.amdhsa_float_denorm_mode_16_64 3
		.amdhsa_dx10_clamp 1
		.amdhsa_ieee_mode 1
		.amdhsa_fp16_overflow 0
		.amdhsa_workgroup_processor_mode 1
		.amdhsa_memory_ordered 1
		.amdhsa_forward_progress 1
		.amdhsa_shared_vgpr_count 0
		.amdhsa_exception_fp_ieee_invalid_op 0
		.amdhsa_exception_fp_denorm_src 0
		.amdhsa_exception_fp_ieee_div_zero 0
		.amdhsa_exception_fp_ieee_overflow 0
		.amdhsa_exception_fp_ieee_underflow 0
		.amdhsa_exception_fp_ieee_inexact 0
		.amdhsa_exception_int_div_zero 0
	.end_amdhsa_kernel
	.section	.text._ZN9rocsparseL17kernel_correctionILi1024ELi4EfiiEEvT3_T2_PKS2_S4_PKS1_PKT1_21rocsparse_index_base_S4_S4_S6_S9_PS7_SA_S4_S4_S6_S9_SB_SA_S9_SB_,"axG",@progbits,_ZN9rocsparseL17kernel_correctionILi1024ELi4EfiiEEvT3_T2_PKS2_S4_PKS1_PKT1_21rocsparse_index_base_S4_S4_S6_S9_PS7_SA_S4_S4_S6_S9_SB_SA_S9_SB_,comdat
.Lfunc_end2:
	.size	_ZN9rocsparseL17kernel_correctionILi1024ELi4EfiiEEvT3_T2_PKS2_S4_PKS1_PKT1_21rocsparse_index_base_S4_S4_S6_S9_PS7_SA_S4_S4_S6_S9_SB_SA_S9_SB_, .Lfunc_end2-_ZN9rocsparseL17kernel_correctionILi1024ELi4EfiiEEvT3_T2_PKS2_S4_PKS1_PKT1_21rocsparse_index_base_S4_S4_S6_S9_PS7_SA_S4_S4_S6_S9_SB_SA_S9_SB_
                                        ; -- End function
	.set _ZN9rocsparseL17kernel_correctionILi1024ELi4EfiiEEvT3_T2_PKS2_S4_PKS1_PKT1_21rocsparse_index_base_S4_S4_S6_S9_PS7_SA_S4_S4_S6_S9_SB_SA_S9_SB_.num_vgpr, 34
	.set _ZN9rocsparseL17kernel_correctionILi1024ELi4EfiiEEvT3_T2_PKS2_S4_PKS1_PKT1_21rocsparse_index_base_S4_S4_S6_S9_PS7_SA_S4_S4_S6_S9_SB_SA_S9_SB_.num_agpr, 0
	.set _ZN9rocsparseL17kernel_correctionILi1024ELi4EfiiEEvT3_T2_PKS2_S4_PKS1_PKT1_21rocsparse_index_base_S4_S4_S6_S9_PS7_SA_S4_S4_S6_S9_SB_SA_S9_SB_.numbered_sgpr, 52
	.set _ZN9rocsparseL17kernel_correctionILi1024ELi4EfiiEEvT3_T2_PKS2_S4_PKS1_PKT1_21rocsparse_index_base_S4_S4_S6_S9_PS7_SA_S4_S4_S6_S9_SB_SA_S9_SB_.num_named_barrier, 0
	.set _ZN9rocsparseL17kernel_correctionILi1024ELi4EfiiEEvT3_T2_PKS2_S4_PKS1_PKT1_21rocsparse_index_base_S4_S4_S6_S9_PS7_SA_S4_S4_S6_S9_SB_SA_S9_SB_.private_seg_size, 0
	.set _ZN9rocsparseL17kernel_correctionILi1024ELi4EfiiEEvT3_T2_PKS2_S4_PKS1_PKT1_21rocsparse_index_base_S4_S4_S6_S9_PS7_SA_S4_S4_S6_S9_SB_SA_S9_SB_.uses_vcc, 1
	.set _ZN9rocsparseL17kernel_correctionILi1024ELi4EfiiEEvT3_T2_PKS2_S4_PKS1_PKT1_21rocsparse_index_base_S4_S4_S6_S9_PS7_SA_S4_S4_S6_S9_SB_SA_S9_SB_.uses_flat_scratch, 0
	.set _ZN9rocsparseL17kernel_correctionILi1024ELi4EfiiEEvT3_T2_PKS2_S4_PKS1_PKT1_21rocsparse_index_base_S4_S4_S6_S9_PS7_SA_S4_S4_S6_S9_SB_SA_S9_SB_.has_dyn_sized_stack, 0
	.set _ZN9rocsparseL17kernel_correctionILi1024ELi4EfiiEEvT3_T2_PKS2_S4_PKS1_PKT1_21rocsparse_index_base_S4_S4_S6_S9_PS7_SA_S4_S4_S6_S9_SB_SA_S9_SB_.has_recursion, 0
	.set _ZN9rocsparseL17kernel_correctionILi1024ELi4EfiiEEvT3_T2_PKS2_S4_PKS1_PKT1_21rocsparse_index_base_S4_S4_S6_S9_PS7_SA_S4_S4_S6_S9_SB_SA_S9_SB_.has_indirect_call, 0
	.section	.AMDGPU.csdata,"",@progbits
; Kernel info:
; codeLenInByte = 1656
; TotalNumSgprs: 54
; NumVgprs: 34
; ScratchSize: 0
; MemoryBound: 0
; FloatMode: 240
; IeeeMode: 1
; LDSByteSize: 0 bytes/workgroup (compile time only)
; SGPRBlocks: 0
; VGPRBlocks: 4
; NumSGPRsForWavesPerEU: 54
; NumVGPRsForWavesPerEU: 34
; Occupancy: 16
; WaveLimiterHint : 1
; COMPUTE_PGM_RSRC2:SCRATCH_EN: 0
; COMPUTE_PGM_RSRC2:USER_SGPR: 6
; COMPUTE_PGM_RSRC2:TRAP_HANDLER: 0
; COMPUTE_PGM_RSRC2:TGID_X_EN: 1
; COMPUTE_PGM_RSRC2:TGID_Y_EN: 0
; COMPUTE_PGM_RSRC2:TGID_Z_EN: 0
; COMPUTE_PGM_RSRC2:TIDIG_COMP_CNT: 0
	.section	.text._ZN9rocsparseL17kernel_correctionILi1024ELi8EfiiEEvT3_T2_PKS2_S4_PKS1_PKT1_21rocsparse_index_base_S4_S4_S6_S9_PS7_SA_S4_S4_S6_S9_SB_SA_S9_SB_,"axG",@progbits,_ZN9rocsparseL17kernel_correctionILi1024ELi8EfiiEEvT3_T2_PKS2_S4_PKS1_PKT1_21rocsparse_index_base_S4_S4_S6_S9_PS7_SA_S4_S4_S6_S9_SB_SA_S9_SB_,comdat
	.globl	_ZN9rocsparseL17kernel_correctionILi1024ELi8EfiiEEvT3_T2_PKS2_S4_PKS1_PKT1_21rocsparse_index_base_S4_S4_S6_S9_PS7_SA_S4_S4_S6_S9_SB_SA_S9_SB_ ; -- Begin function _ZN9rocsparseL17kernel_correctionILi1024ELi8EfiiEEvT3_T2_PKS2_S4_PKS1_PKT1_21rocsparse_index_base_S4_S4_S6_S9_PS7_SA_S4_S4_S6_S9_SB_SA_S9_SB_
	.p2align	8
	.type	_ZN9rocsparseL17kernel_correctionILi1024ELi8EfiiEEvT3_T2_PKS2_S4_PKS1_PKT1_21rocsparse_index_base_S4_S4_S6_S9_PS7_SA_S4_S4_S6_S9_SB_SA_S9_SB_,@function
_ZN9rocsparseL17kernel_correctionILi1024ELi8EfiiEEvT3_T2_PKS2_S4_PKS1_PKT1_21rocsparse_index_base_S4_S4_S6_S9_PS7_SA_S4_S4_S6_S9_SB_SA_S9_SB_: ; @_ZN9rocsparseL17kernel_correctionILi1024ELi8EfiiEEvT3_T2_PKS2_S4_PKS1_PKT1_21rocsparse_index_base_S4_S4_S6_S9_PS7_SA_S4_S4_S6_S9_SB_SA_S9_SB_
; %bb.0:
	s_load_dword s33, s[4:5], 0x0
	v_lshrrev_b32_e32 v1, 3, v0
	s_lshl_b32 s34, s6, 10
	s_mov_b32 s0, exec_lo
	v_or_b32_e32 v1, s34, v1
	s_waitcnt lgkmcnt(0)
	v_cmpx_gt_i32_e64 s33, v1
	s_cbranch_execz .LBB3_40
; %bb.1:
	s_addk_i32 s34, 0x400
	v_cmp_gt_u32_e32 vcc_lo, s34, v1
	s_and_b32 exec_lo, exec_lo, vcc_lo
	s_cbranch_execz .LBB3_40
; %bb.2:
	s_clause 0x8
	s_load_dwordx4 s[36:39], s[4:5], 0x90
	s_load_dwordx8 s[8:15], s[4:5], 0x60
	s_load_dword s35, s[4:5], 0x28
	s_load_dwordx8 s[16:23], s[4:5], 0x30
	s_load_dwordx8 s[24:31], s[4:5], 0x8
	s_load_dwordx2 s[2:3], s[4:5], 0x50
	s_load_dword s40, s[4:5], 0x58
	s_load_dwordx2 s[6:7], s[4:5], 0x80
	s_load_dword s4, s[4:5], 0x88
	v_and_b32_e32 v0, 7, v0
	v_mov_b32_e32 v3, 0
	s_mov_b32 s5, 0
	s_waitcnt lgkmcnt(0)
	v_subrev_nc_u32_e32 v0, s35, v0
	s_branch .LBB3_4
.LBB3_3:                                ;   in Loop: Header=BB3_4 Depth=1
	s_or_b32 exec_lo, exec_lo, s41
	v_add_nc_u32_e32 v1, 0x80, v1
	v_cmp_le_u32_e32 vcc_lo, s34, v1
	s_or_b32 s5, vcc_lo, s5
	s_andn2_b32 exec_lo, exec_lo, s5
	s_cbranch_execz .LBB3_40
.LBB3_4:                                ; =>This Loop Header: Depth=1
                                        ;     Child Loop BB3_8 Depth 2
                                        ;       Child Loop BB3_12 Depth 3
                                        ;       Child Loop BB3_26 Depth 3
	;; [unrolled: 1-line block ×3, first 2 shown]
	s_mov_b32 s41, exec_lo
	v_cmpx_gt_i32_e64 s33, v1
	s_cbranch_execz .LBB3_3
; %bb.5:                                ;   in Loop: Header=BB3_4 Depth=1
	v_ashrrev_i32_e32 v2, 31, v1
	v_lshlrev_b64 v[5:6], 2, v[1:2]
	v_add_co_u32 v7, vcc_lo, s24, v5
	v_add_co_ci_u32_e64 v8, null, s25, v6, vcc_lo
	v_add_co_u32 v9, vcc_lo, s26, v5
	v_add_co_ci_u32_e64 v10, null, s27, v6, vcc_lo
	global_load_dword v2, v[7:8], off
	global_load_dword v7, v[9:10], off
	s_waitcnt vmcnt(1)
	v_add_nc_u32_e32 v4, v0, v2
	s_waitcnt vmcnt(0)
	v_subrev_nc_u32_e32 v19, s35, v7
	v_cmp_lt_i32_e32 vcc_lo, v4, v19
	s_and_b32 exec_lo, exec_lo, vcc_lo
	s_cbranch_execz .LBB3_3
; %bb.6:                                ;   in Loop: Header=BB3_4 Depth=1
	v_add_co_u32 v7, vcc_lo, s16, v5
	v_add_co_ci_u32_e64 v8, null, s17, v6, vcc_lo
	v_add_co_u32 v5, vcc_lo, s18, v5
	v_add_co_ci_u32_e64 v6, null, s19, v6, vcc_lo
	global_load_dword v2, v[7:8], off
	s_mov_b32 s42, 0
	global_load_dword v5, v[5:6], off
	s_waitcnt vmcnt(1)
	v_subrev_nc_u32_e32 v6, s40, v2
	s_waitcnt vmcnt(0)
	v_sub_nc_u32_e32 v20, v5, v2
	v_ashrrev_i32_e32 v7, 31, v6
	v_cmp_lt_i32_e64 s0, 0, v20
	v_lshlrev_b64 v[7:8], 2, v[6:7]
	v_add_co_u32 v21, vcc_lo, s20, v7
	v_add_co_ci_u32_e64 v22, null, s21, v8, vcc_lo
	v_add_co_u32 v23, vcc_lo, s22, v7
	v_add_co_ci_u32_e64 v24, null, s23, v8, vcc_lo
	s_branch .LBB3_8
.LBB3_7:                                ;   in Loop: Header=BB3_8 Depth=2
	s_or_b32 exec_lo, exec_lo, s43
	v_add_nc_u32_e32 v4, 8, v4
	v_cmp_ge_i32_e32 vcc_lo, v4, v19
	s_or_b32 s42, vcc_lo, s42
	s_andn2_b32 exec_lo, exec_lo, s42
	s_cbranch_execz .LBB3_3
.LBB3_8:                                ;   Parent Loop BB3_4 Depth=1
                                        ; =>  This Loop Header: Depth=2
                                        ;       Child Loop BB3_12 Depth 3
                                        ;       Child Loop BB3_26 Depth 3
	;; [unrolled: 1-line block ×3, first 2 shown]
	v_ashrrev_i32_e32 v5, 31, v4
	v_mov_b32_e32 v25, 0
	v_lshlrev_b64 v[13:14], 2, v[4:5]
	v_add_co_u32 v7, vcc_lo, s28, v13
	v_add_co_ci_u32_e64 v8, null, s29, v14, vcc_lo
	global_load_dword v2, v[7:8], off
	s_waitcnt vmcnt(0)
	v_subrev_nc_u32_e32 v7, s35, v2
	v_ashrrev_i32_e32 v8, 31, v7
	v_lshlrev_b64 v[11:12], 2, v[7:8]
	v_add_co_u32 v8, vcc_lo, s8, v11
	v_add_co_ci_u32_e64 v9, null, s9, v12, vcc_lo
	v_add_co_u32 v15, vcc_lo, s10, v11
	v_add_co_ci_u32_e64 v16, null, s11, v12, vcc_lo
	global_load_dword v2, v[8:9], off
	global_load_dword v5, v[15:16], off
	v_mov_b32_e32 v9, 0
	s_waitcnt vmcnt(1)
	v_subrev_nc_u32_e32 v8, s4, v2
	s_waitcnt vmcnt(0)
	v_sub_nc_u32_e32 v5, v5, v2
	v_mov_b32_e32 v2, v9
	s_and_saveexec_b32 s43, s0
	s_cbranch_execz .LBB3_16
; %bb.9:                                ;   in Loop: Header=BB3_8 Depth=2
	v_ashrrev_i32_e32 v9, 31, v8
	v_mov_b32_e32 v25, 0
	v_mov_b32_e32 v2, 0
	s_mov_b32 s44, 0
                                        ; implicit-def: $sgpr45
	v_lshlrev_b64 v[9:10], 2, v[8:9]
	v_add_co_u32 v26, vcc_lo, s12, v9
	v_add_co_ci_u32_e64 v27, null, s13, v10, vcc_lo
	v_add_co_u32 v28, vcc_lo, s14, v9
	v_add_co_ci_u32_e64 v29, null, s15, v10, vcc_lo
	v_mov_b32_e32 v9, 0
	s_branch .LBB3_12
.LBB3_10:                               ;   in Loop: Header=BB3_12 Depth=3
	s_or_b32 exec_lo, exec_lo, s1
	v_cmp_le_i32_e32 vcc_lo, v10, v30
	v_cmp_ge_i32_e64 s1, v10, v30
	v_add_co_ci_u32_e64 v2, null, 0, v2, vcc_lo
	v_add_co_ci_u32_e64 v9, null, 0, v9, s1
	s_andn2_b32 s1, s45, exec_lo
	v_cmp_ge_i32_e32 vcc_lo, v2, v20
	s_and_b32 s45, vcc_lo, exec_lo
	s_or_b32 s45, s1, s45
.LBB3_11:                               ;   in Loop: Header=BB3_12 Depth=3
	s_or_b32 exec_lo, exec_lo, s46
	s_and_b32 s1, exec_lo, s45
	s_or_b32 s44, s1, s44
	s_andn2_b32 exec_lo, exec_lo, s44
	s_cbranch_execz .LBB3_15
.LBB3_12:                               ;   Parent Loop BB3_4 Depth=1
                                        ;     Parent Loop BB3_8 Depth=2
                                        ; =>    This Inner Loop Header: Depth=3
	s_or_b32 s45, s45, exec_lo
	s_mov_b32 s46, exec_lo
	v_cmpx_lt_i32_e64 v9, v5
	s_cbranch_execz .LBB3_11
; %bb.13:                               ;   in Loop: Header=BB3_12 Depth=3
	v_mov_b32_e32 v10, v3
	v_lshlrev_b64 v[17:18], 2, v[2:3]
	s_mov_b32 s1, exec_lo
	v_lshlrev_b64 v[15:16], 2, v[9:10]
	v_add_co_u32 v30, vcc_lo, v21, v17
	v_add_co_ci_u32_e64 v31, null, v22, v18, vcc_lo
	v_add_co_u32 v32, vcc_lo, v26, v15
	v_add_co_ci_u32_e64 v33, null, v27, v16, vcc_lo
	global_load_dword v10, v[30:31], off
	global_load_dword v30, v[32:33], off
	s_waitcnt vmcnt(1)
	v_subrev_nc_u32_e32 v10, s40, v10
	s_waitcnt vmcnt(0)
	v_subrev_nc_u32_e32 v30, s4, v30
	v_cmpx_eq_u32_e64 v10, v30
	s_cbranch_execz .LBB3_10
; %bb.14:                               ;   in Loop: Header=BB3_12 Depth=3
	v_add_co_u32 v17, vcc_lo, v23, v17
	v_add_co_ci_u32_e64 v18, null, v24, v18, vcc_lo
	v_add_co_u32 v15, vcc_lo, v28, v15
	v_add_co_ci_u32_e64 v16, null, v29, v16, vcc_lo
	global_load_dword v17, v[17:18], off
	global_load_dword v15, v[15:16], off
	s_waitcnt vmcnt(0)
	v_fmac_f32_e32 v25, v17, v15
	s_branch .LBB3_10
.LBB3_15:                               ;   in Loop: Header=BB3_8 Depth=2
	s_or_b32 exec_lo, exec_lo, s44
.LBB3_16:                               ;   in Loop: Header=BB3_8 Depth=2
	s_or_b32 exec_lo, exec_lo, s43
	v_add_co_u32 v13, vcc_lo, s30, v13
	v_add_co_ci_u32_e64 v14, null, s31, v14, vcc_lo
	v_cmp_le_i32_e64 s1, v1, v7
	s_mov_b32 s43, exec_lo
	global_load_dword v10, v[13:14], off
	s_waitcnt vmcnt(0)
	v_sub_f32_e32 v13, v10, v25
	v_cmpx_gt_i32_e64 v1, v7
	s_cbranch_execz .LBB3_18
; %bb.17:                               ;   in Loop: Header=BB3_8 Depth=2
	v_add_co_u32 v14, vcc_lo, s36, v11
	v_add_co_ci_u32_e64 v15, null, s37, v12, vcc_lo
	global_load_dword v10, v[14:15], off
	s_waitcnt vmcnt(0)
	v_div_scale_f32 v14, null, v10, v10, v13
	v_rcp_f32_e32 v15, v14
	v_fma_f32 v16, -v14, v15, 1.0
	v_fmac_f32_e32 v15, v16, v15
	v_div_scale_f32 v16, vcc_lo, v13, v10, v13
	v_mul_f32_e32 v17, v16, v15
	v_fma_f32 v18, -v14, v17, v16
	v_fmac_f32_e32 v17, v18, v15
	v_fma_f32 v14, -v14, v17, v16
	v_div_fmas_f32 v14, v14, v15, v17
	v_div_fixup_f32 v13, v14, v10, v13
.LBB3_18:                               ;   in Loop: Header=BB3_8 Depth=2
	s_or_b32 exec_lo, exec_lo, s43
	v_cmp_class_f32_e64 s44, v13, 0x1f8
	s_and_saveexec_b32 s43, s44
	s_cbranch_execz .LBB3_7
; %bb.19:                               ;   in Loop: Header=BB3_8 Depth=2
	s_and_saveexec_b32 s44, s1
	s_xor_b32 s1, exec_lo, s44
	s_cbranch_execz .LBB3_32
; %bb.20:                               ;   in Loop: Header=BB3_8 Depth=2
	s_mov_b32 s44, exec_lo
	v_cmpx_ge_i32_e64 v1, v7
	s_xor_b32 s44, exec_lo, s44
	s_cbranch_execz .LBB3_22
; %bb.21:                               ;   in Loop: Header=BB3_8 Depth=2
	v_add_co_u32 v7, vcc_lo, s38, v11
	v_add_co_ci_u32_e64 v8, null, s39, v12, vcc_lo
                                        ; implicit-def: $vgpr9
                                        ; implicit-def: $vgpr5
	global_store_dword v[7:8], v13, off
                                        ; implicit-def: $vgpr13
                                        ; implicit-def: $vgpr8
.LBB3_22:                               ;   in Loop: Header=BB3_8 Depth=2
	s_andn2_saveexec_b32 s44, s44
	s_cbranch_execz .LBB3_31
; %bb.23:                               ;   in Loop: Header=BB3_8 Depth=2
	s_mov_b32 s45, exec_lo
	v_cmpx_lt_i32_e64 v9, v5
	s_cbranch_execz .LBB3_30
; %bb.24:                               ;   in Loop: Header=BB3_8 Depth=2
	s_mov_b32 s46, 0
                                        ; implicit-def: $sgpr47
                                        ; implicit-def: $sgpr49
                                        ; implicit-def: $sgpr48
	s_inst_prefetch 0x1
	s_branch .LBB3_26
	.p2align	6
.LBB3_25:                               ;   in Loop: Header=BB3_26 Depth=3
	s_or_b32 exec_lo, exec_lo, s50
	s_and_b32 s50, exec_lo, s49
	s_or_b32 s46, s50, s46
	s_andn2_b32 s47, s47, exec_lo
	s_and_b32 s50, s48, exec_lo
	s_or_b32 s47, s47, s50
	s_andn2_b32 exec_lo, exec_lo, s46
	s_cbranch_execz .LBB3_28
.LBB3_26:                               ;   Parent Loop BB3_4 Depth=1
                                        ;     Parent Loop BB3_8 Depth=2
                                        ; =>    This Inner Loop Header: Depth=3
	v_add_nc_u32_e32 v10, v8, v9
	s_or_b32 s48, s48, exec_lo
	s_or_b32 s49, s49, exec_lo
	s_mov_b32 s50, exec_lo
	v_ashrrev_i32_e32 v11, 31, v10
	v_lshlrev_b64 v[10:11], 2, v[10:11]
	v_add_co_u32 v14, vcc_lo, s12, v10
	v_add_co_ci_u32_e64 v15, null, s13, v11, vcc_lo
	global_load_dword v2, v[14:15], off
	s_waitcnt vmcnt(0)
	v_subrev_nc_u32_e32 v2, s4, v2
	v_cmpx_ne_u32_e64 v2, v1
	s_cbranch_execz .LBB3_25
; %bb.27:                               ;   in Loop: Header=BB3_26 Depth=3
	v_add_nc_u32_e32 v9, 1, v9
	s_andn2_b32 s49, s49, exec_lo
	s_andn2_b32 s48, s48, exec_lo
	v_cmp_ge_i32_e32 vcc_lo, v9, v5
	s_and_b32 s51, vcc_lo, exec_lo
	s_or_b32 s49, s49, s51
	s_branch .LBB3_25
.LBB3_28:                               ;   in Loop: Header=BB3_8 Depth=2
	s_inst_prefetch 0x2
	s_or_b32 exec_lo, exec_lo, s46
	s_and_saveexec_b32 s46, s47
	s_xor_b32 s46, exec_lo, s46
	s_cbranch_execz .LBB3_30
; %bb.29:                               ;   in Loop: Header=BB3_8 Depth=2
	v_add_co_u32 v7, vcc_lo, s6, v10
	v_add_co_ci_u32_e64 v8, null, s7, v11, vcc_lo
	global_store_dword v[7:8], v13, off
.LBB3_30:                               ;   in Loop: Header=BB3_8 Depth=2
	s_or_b32 exec_lo, exec_lo, s45
.LBB3_31:                               ;   in Loop: Header=BB3_8 Depth=2
	s_or_b32 exec_lo, exec_lo, s44
                                        ; implicit-def: $vgpr13
                                        ; implicit-def: $vgpr7_vgpr8
.LBB3_32:                               ;   in Loop: Header=BB3_8 Depth=2
	s_andn2_saveexec_b32 s1, s1
	s_cbranch_execz .LBB3_7
; %bb.33:                               ;   in Loop: Header=BB3_8 Depth=2
	v_cmp_lt_i32_e32 vcc_lo, v2, v20
	s_and_b32 exec_lo, exec_lo, vcc_lo
	s_cbranch_execz .LBB3_7
; %bb.34:                               ;   in Loop: Header=BB3_8 Depth=2
	s_mov_b32 s1, 0
                                        ; implicit-def: $sgpr44
                                        ; implicit-def: $sgpr46
                                        ; implicit-def: $sgpr45
	s_inst_prefetch 0x1
	s_branch .LBB3_36
	.p2align	6
.LBB3_35:                               ;   in Loop: Header=BB3_36 Depth=3
	s_or_b32 exec_lo, exec_lo, s47
	s_and_b32 s47, exec_lo, s46
	s_or_b32 s1, s47, s1
	s_andn2_b32 s44, s44, exec_lo
	s_and_b32 s47, s45, exec_lo
	s_or_b32 s44, s44, s47
	s_andn2_b32 exec_lo, exec_lo, s1
	s_cbranch_execz .LBB3_38
.LBB3_36:                               ;   Parent Loop BB3_4 Depth=1
                                        ;     Parent Loop BB3_8 Depth=2
                                        ; =>    This Inner Loop Header: Depth=3
	v_add_nc_u32_e32 v8, v6, v2
	s_or_b32 s45, s45, exec_lo
	s_or_b32 s46, s46, exec_lo
	s_mov_b32 s47, exec_lo
	v_ashrrev_i32_e32 v9, 31, v8
	v_lshlrev_b64 v[8:9], 2, v[8:9]
	v_add_co_u32 v10, vcc_lo, s20, v8
	v_add_co_ci_u32_e64 v11, null, s21, v9, vcc_lo
	global_load_dword v5, v[10:11], off
	s_waitcnt vmcnt(0)
	v_subrev_nc_u32_e32 v5, s40, v5
	v_cmpx_ne_u32_e64 v5, v7
	s_cbranch_execz .LBB3_35
; %bb.37:                               ;   in Loop: Header=BB3_36 Depth=3
	v_add_nc_u32_e32 v2, 1, v2
	s_andn2_b32 s46, s46, exec_lo
	s_andn2_b32 s45, s45, exec_lo
	v_cmp_ge_i32_e32 vcc_lo, v2, v20
	s_and_b32 s48, vcc_lo, exec_lo
	s_or_b32 s46, s46, s48
	s_branch .LBB3_35
.LBB3_38:                               ;   in Loop: Header=BB3_8 Depth=2
	s_inst_prefetch 0x2
	s_or_b32 exec_lo, exec_lo, s1
	s_and_saveexec_b32 s1, s44
	s_xor_b32 s1, exec_lo, s1
	s_cbranch_execz .LBB3_7
; %bb.39:                               ;   in Loop: Header=BB3_8 Depth=2
	v_add_co_u32 v7, vcc_lo, s2, v8
	v_add_co_ci_u32_e64 v8, null, s3, v9, vcc_lo
	global_store_dword v[7:8], v13, off
	s_branch .LBB3_7
.LBB3_40:
	s_endpgm
	.section	.rodata,"a",@progbits
	.p2align	6, 0x0
	.amdhsa_kernel _ZN9rocsparseL17kernel_correctionILi1024ELi8EfiiEEvT3_T2_PKS2_S4_PKS1_PKT1_21rocsparse_index_base_S4_S4_S6_S9_PS7_SA_S4_S4_S6_S9_SB_SA_S9_SB_
		.amdhsa_group_segment_fixed_size 0
		.amdhsa_private_segment_fixed_size 0
		.amdhsa_kernarg_size 160
		.amdhsa_user_sgpr_count 6
		.amdhsa_user_sgpr_private_segment_buffer 1
		.amdhsa_user_sgpr_dispatch_ptr 0
		.amdhsa_user_sgpr_queue_ptr 0
		.amdhsa_user_sgpr_kernarg_segment_ptr 1
		.amdhsa_user_sgpr_dispatch_id 0
		.amdhsa_user_sgpr_flat_scratch_init 0
		.amdhsa_user_sgpr_private_segment_size 0
		.amdhsa_wavefront_size32 1
		.amdhsa_uses_dynamic_stack 0
		.amdhsa_system_sgpr_private_segment_wavefront_offset 0
		.amdhsa_system_sgpr_workgroup_id_x 1
		.amdhsa_system_sgpr_workgroup_id_y 0
		.amdhsa_system_sgpr_workgroup_id_z 0
		.amdhsa_system_sgpr_workgroup_info 0
		.amdhsa_system_vgpr_workitem_id 0
		.amdhsa_next_free_vgpr 34
		.amdhsa_next_free_sgpr 52
		.amdhsa_reserve_vcc 1
		.amdhsa_reserve_flat_scratch 0
		.amdhsa_float_round_mode_32 0
		.amdhsa_float_round_mode_16_64 0
		.amdhsa_float_denorm_mode_32 3
		.amdhsa_float_denorm_mode_16_64 3
		.amdhsa_dx10_clamp 1
		.amdhsa_ieee_mode 1
		.amdhsa_fp16_overflow 0
		.amdhsa_workgroup_processor_mode 1
		.amdhsa_memory_ordered 1
		.amdhsa_forward_progress 1
		.amdhsa_shared_vgpr_count 0
		.amdhsa_exception_fp_ieee_invalid_op 0
		.amdhsa_exception_fp_denorm_src 0
		.amdhsa_exception_fp_ieee_div_zero 0
		.amdhsa_exception_fp_ieee_overflow 0
		.amdhsa_exception_fp_ieee_underflow 0
		.amdhsa_exception_fp_ieee_inexact 0
		.amdhsa_exception_int_div_zero 0
	.end_amdhsa_kernel
	.section	.text._ZN9rocsparseL17kernel_correctionILi1024ELi8EfiiEEvT3_T2_PKS2_S4_PKS1_PKT1_21rocsparse_index_base_S4_S4_S6_S9_PS7_SA_S4_S4_S6_S9_SB_SA_S9_SB_,"axG",@progbits,_ZN9rocsparseL17kernel_correctionILi1024ELi8EfiiEEvT3_T2_PKS2_S4_PKS1_PKT1_21rocsparse_index_base_S4_S4_S6_S9_PS7_SA_S4_S4_S6_S9_SB_SA_S9_SB_,comdat
.Lfunc_end3:
	.size	_ZN9rocsparseL17kernel_correctionILi1024ELi8EfiiEEvT3_T2_PKS2_S4_PKS1_PKT1_21rocsparse_index_base_S4_S4_S6_S9_PS7_SA_S4_S4_S6_S9_SB_SA_S9_SB_, .Lfunc_end3-_ZN9rocsparseL17kernel_correctionILi1024ELi8EfiiEEvT3_T2_PKS2_S4_PKS1_PKT1_21rocsparse_index_base_S4_S4_S6_S9_PS7_SA_S4_S4_S6_S9_SB_SA_S9_SB_
                                        ; -- End function
	.set _ZN9rocsparseL17kernel_correctionILi1024ELi8EfiiEEvT3_T2_PKS2_S4_PKS1_PKT1_21rocsparse_index_base_S4_S4_S6_S9_PS7_SA_S4_S4_S6_S9_SB_SA_S9_SB_.num_vgpr, 34
	.set _ZN9rocsparseL17kernel_correctionILi1024ELi8EfiiEEvT3_T2_PKS2_S4_PKS1_PKT1_21rocsparse_index_base_S4_S4_S6_S9_PS7_SA_S4_S4_S6_S9_SB_SA_S9_SB_.num_agpr, 0
	.set _ZN9rocsparseL17kernel_correctionILi1024ELi8EfiiEEvT3_T2_PKS2_S4_PKS1_PKT1_21rocsparse_index_base_S4_S4_S6_S9_PS7_SA_S4_S4_S6_S9_SB_SA_S9_SB_.numbered_sgpr, 52
	.set _ZN9rocsparseL17kernel_correctionILi1024ELi8EfiiEEvT3_T2_PKS2_S4_PKS1_PKT1_21rocsparse_index_base_S4_S4_S6_S9_PS7_SA_S4_S4_S6_S9_SB_SA_S9_SB_.num_named_barrier, 0
	.set _ZN9rocsparseL17kernel_correctionILi1024ELi8EfiiEEvT3_T2_PKS2_S4_PKS1_PKT1_21rocsparse_index_base_S4_S4_S6_S9_PS7_SA_S4_S4_S6_S9_SB_SA_S9_SB_.private_seg_size, 0
	.set _ZN9rocsparseL17kernel_correctionILi1024ELi8EfiiEEvT3_T2_PKS2_S4_PKS1_PKT1_21rocsparse_index_base_S4_S4_S6_S9_PS7_SA_S4_S4_S6_S9_SB_SA_S9_SB_.uses_vcc, 1
	.set _ZN9rocsparseL17kernel_correctionILi1024ELi8EfiiEEvT3_T2_PKS2_S4_PKS1_PKT1_21rocsparse_index_base_S4_S4_S6_S9_PS7_SA_S4_S4_S6_S9_SB_SA_S9_SB_.uses_flat_scratch, 0
	.set _ZN9rocsparseL17kernel_correctionILi1024ELi8EfiiEEvT3_T2_PKS2_S4_PKS1_PKT1_21rocsparse_index_base_S4_S4_S6_S9_PS7_SA_S4_S4_S6_S9_SB_SA_S9_SB_.has_dyn_sized_stack, 0
	.set _ZN9rocsparseL17kernel_correctionILi1024ELi8EfiiEEvT3_T2_PKS2_S4_PKS1_PKT1_21rocsparse_index_base_S4_S4_S6_S9_PS7_SA_S4_S4_S6_S9_SB_SA_S9_SB_.has_recursion, 0
	.set _ZN9rocsparseL17kernel_correctionILi1024ELi8EfiiEEvT3_T2_PKS2_S4_PKS1_PKT1_21rocsparse_index_base_S4_S4_S6_S9_PS7_SA_S4_S4_S6_S9_SB_SA_S9_SB_.has_indirect_call, 0
	.section	.AMDGPU.csdata,"",@progbits
; Kernel info:
; codeLenInByte = 1656
; TotalNumSgprs: 54
; NumVgprs: 34
; ScratchSize: 0
; MemoryBound: 0
; FloatMode: 240
; IeeeMode: 1
; LDSByteSize: 0 bytes/workgroup (compile time only)
; SGPRBlocks: 0
; VGPRBlocks: 4
; NumSGPRsForWavesPerEU: 54
; NumVGPRsForWavesPerEU: 34
; Occupancy: 16
; WaveLimiterHint : 1
; COMPUTE_PGM_RSRC2:SCRATCH_EN: 0
; COMPUTE_PGM_RSRC2:USER_SGPR: 6
; COMPUTE_PGM_RSRC2:TRAP_HANDLER: 0
; COMPUTE_PGM_RSRC2:TGID_X_EN: 1
; COMPUTE_PGM_RSRC2:TGID_Y_EN: 0
; COMPUTE_PGM_RSRC2:TGID_Z_EN: 0
; COMPUTE_PGM_RSRC2:TIDIG_COMP_CNT: 0
	.section	.text._ZN9rocsparseL17kernel_correctionILi1024ELi16EfiiEEvT3_T2_PKS2_S4_PKS1_PKT1_21rocsparse_index_base_S4_S4_S6_S9_PS7_SA_S4_S4_S6_S9_SB_SA_S9_SB_,"axG",@progbits,_ZN9rocsparseL17kernel_correctionILi1024ELi16EfiiEEvT3_T2_PKS2_S4_PKS1_PKT1_21rocsparse_index_base_S4_S4_S6_S9_PS7_SA_S4_S4_S6_S9_SB_SA_S9_SB_,comdat
	.globl	_ZN9rocsparseL17kernel_correctionILi1024ELi16EfiiEEvT3_T2_PKS2_S4_PKS1_PKT1_21rocsparse_index_base_S4_S4_S6_S9_PS7_SA_S4_S4_S6_S9_SB_SA_S9_SB_ ; -- Begin function _ZN9rocsparseL17kernel_correctionILi1024ELi16EfiiEEvT3_T2_PKS2_S4_PKS1_PKT1_21rocsparse_index_base_S4_S4_S6_S9_PS7_SA_S4_S4_S6_S9_SB_SA_S9_SB_
	.p2align	8
	.type	_ZN9rocsparseL17kernel_correctionILi1024ELi16EfiiEEvT3_T2_PKS2_S4_PKS1_PKT1_21rocsparse_index_base_S4_S4_S6_S9_PS7_SA_S4_S4_S6_S9_SB_SA_S9_SB_,@function
_ZN9rocsparseL17kernel_correctionILi1024ELi16EfiiEEvT3_T2_PKS2_S4_PKS1_PKT1_21rocsparse_index_base_S4_S4_S6_S9_PS7_SA_S4_S4_S6_S9_SB_SA_S9_SB_: ; @_ZN9rocsparseL17kernel_correctionILi1024ELi16EfiiEEvT3_T2_PKS2_S4_PKS1_PKT1_21rocsparse_index_base_S4_S4_S6_S9_PS7_SA_S4_S4_S6_S9_SB_SA_S9_SB_
; %bb.0:
	s_load_dword s33, s[4:5], 0x0
	v_lshrrev_b32_e32 v1, 4, v0
	s_lshl_b32 s34, s6, 10
	s_mov_b32 s0, exec_lo
	v_or_b32_e32 v1, s34, v1
	s_waitcnt lgkmcnt(0)
	v_cmpx_gt_i32_e64 s33, v1
	s_cbranch_execz .LBB4_40
; %bb.1:
	s_addk_i32 s34, 0x400
	v_cmp_gt_u32_e32 vcc_lo, s34, v1
	s_and_b32 exec_lo, exec_lo, vcc_lo
	s_cbranch_execz .LBB4_40
; %bb.2:
	s_clause 0x8
	s_load_dwordx4 s[36:39], s[4:5], 0x90
	s_load_dwordx8 s[8:15], s[4:5], 0x60
	s_load_dword s35, s[4:5], 0x28
	s_load_dwordx8 s[16:23], s[4:5], 0x30
	s_load_dwordx8 s[24:31], s[4:5], 0x8
	s_load_dwordx2 s[2:3], s[4:5], 0x50
	s_load_dword s40, s[4:5], 0x58
	s_load_dwordx2 s[6:7], s[4:5], 0x80
	s_load_dword s4, s[4:5], 0x88
	v_and_b32_e32 v0, 15, v0
	v_mov_b32_e32 v3, 0
	s_mov_b32 s5, 0
	s_waitcnt lgkmcnt(0)
	v_subrev_nc_u32_e32 v0, s35, v0
	s_branch .LBB4_4
.LBB4_3:                                ;   in Loop: Header=BB4_4 Depth=1
	s_or_b32 exec_lo, exec_lo, s41
	v_add_nc_u32_e32 v1, 64, v1
	v_cmp_le_u32_e32 vcc_lo, s34, v1
	s_or_b32 s5, vcc_lo, s5
	s_andn2_b32 exec_lo, exec_lo, s5
	s_cbranch_execz .LBB4_40
.LBB4_4:                                ; =>This Loop Header: Depth=1
                                        ;     Child Loop BB4_8 Depth 2
                                        ;       Child Loop BB4_12 Depth 3
                                        ;       Child Loop BB4_26 Depth 3
	;; [unrolled: 1-line block ×3, first 2 shown]
	s_mov_b32 s41, exec_lo
	v_cmpx_gt_i32_e64 s33, v1
	s_cbranch_execz .LBB4_3
; %bb.5:                                ;   in Loop: Header=BB4_4 Depth=1
	v_ashrrev_i32_e32 v2, 31, v1
	v_lshlrev_b64 v[5:6], 2, v[1:2]
	v_add_co_u32 v7, vcc_lo, s24, v5
	v_add_co_ci_u32_e64 v8, null, s25, v6, vcc_lo
	v_add_co_u32 v9, vcc_lo, s26, v5
	v_add_co_ci_u32_e64 v10, null, s27, v6, vcc_lo
	global_load_dword v2, v[7:8], off
	global_load_dword v7, v[9:10], off
	s_waitcnt vmcnt(1)
	v_add_nc_u32_e32 v4, v0, v2
	s_waitcnt vmcnt(0)
	v_subrev_nc_u32_e32 v19, s35, v7
	v_cmp_lt_i32_e32 vcc_lo, v4, v19
	s_and_b32 exec_lo, exec_lo, vcc_lo
	s_cbranch_execz .LBB4_3
; %bb.6:                                ;   in Loop: Header=BB4_4 Depth=1
	v_add_co_u32 v7, vcc_lo, s16, v5
	v_add_co_ci_u32_e64 v8, null, s17, v6, vcc_lo
	v_add_co_u32 v5, vcc_lo, s18, v5
	v_add_co_ci_u32_e64 v6, null, s19, v6, vcc_lo
	global_load_dword v2, v[7:8], off
	s_mov_b32 s42, 0
	global_load_dword v5, v[5:6], off
	s_waitcnt vmcnt(1)
	v_subrev_nc_u32_e32 v6, s40, v2
	s_waitcnt vmcnt(0)
	v_sub_nc_u32_e32 v20, v5, v2
	v_ashrrev_i32_e32 v7, 31, v6
	v_cmp_lt_i32_e64 s0, 0, v20
	v_lshlrev_b64 v[7:8], 2, v[6:7]
	v_add_co_u32 v21, vcc_lo, s20, v7
	v_add_co_ci_u32_e64 v22, null, s21, v8, vcc_lo
	v_add_co_u32 v23, vcc_lo, s22, v7
	v_add_co_ci_u32_e64 v24, null, s23, v8, vcc_lo
	s_branch .LBB4_8
.LBB4_7:                                ;   in Loop: Header=BB4_8 Depth=2
	s_or_b32 exec_lo, exec_lo, s43
	v_add_nc_u32_e32 v4, 16, v4
	v_cmp_ge_i32_e32 vcc_lo, v4, v19
	s_or_b32 s42, vcc_lo, s42
	s_andn2_b32 exec_lo, exec_lo, s42
	s_cbranch_execz .LBB4_3
.LBB4_8:                                ;   Parent Loop BB4_4 Depth=1
                                        ; =>  This Loop Header: Depth=2
                                        ;       Child Loop BB4_12 Depth 3
                                        ;       Child Loop BB4_26 Depth 3
	;; [unrolled: 1-line block ×3, first 2 shown]
	v_ashrrev_i32_e32 v5, 31, v4
	v_mov_b32_e32 v25, 0
	v_lshlrev_b64 v[13:14], 2, v[4:5]
	v_add_co_u32 v7, vcc_lo, s28, v13
	v_add_co_ci_u32_e64 v8, null, s29, v14, vcc_lo
	global_load_dword v2, v[7:8], off
	s_waitcnt vmcnt(0)
	v_subrev_nc_u32_e32 v7, s35, v2
	v_ashrrev_i32_e32 v8, 31, v7
	v_lshlrev_b64 v[11:12], 2, v[7:8]
	v_add_co_u32 v8, vcc_lo, s8, v11
	v_add_co_ci_u32_e64 v9, null, s9, v12, vcc_lo
	v_add_co_u32 v15, vcc_lo, s10, v11
	v_add_co_ci_u32_e64 v16, null, s11, v12, vcc_lo
	global_load_dword v2, v[8:9], off
	global_load_dword v5, v[15:16], off
	v_mov_b32_e32 v9, 0
	s_waitcnt vmcnt(1)
	v_subrev_nc_u32_e32 v8, s4, v2
	s_waitcnt vmcnt(0)
	v_sub_nc_u32_e32 v5, v5, v2
	v_mov_b32_e32 v2, v9
	s_and_saveexec_b32 s43, s0
	s_cbranch_execz .LBB4_16
; %bb.9:                                ;   in Loop: Header=BB4_8 Depth=2
	v_ashrrev_i32_e32 v9, 31, v8
	v_mov_b32_e32 v25, 0
	v_mov_b32_e32 v2, 0
	s_mov_b32 s44, 0
                                        ; implicit-def: $sgpr45
	v_lshlrev_b64 v[9:10], 2, v[8:9]
	v_add_co_u32 v26, vcc_lo, s12, v9
	v_add_co_ci_u32_e64 v27, null, s13, v10, vcc_lo
	v_add_co_u32 v28, vcc_lo, s14, v9
	v_add_co_ci_u32_e64 v29, null, s15, v10, vcc_lo
	v_mov_b32_e32 v9, 0
	s_branch .LBB4_12
.LBB4_10:                               ;   in Loop: Header=BB4_12 Depth=3
	s_or_b32 exec_lo, exec_lo, s1
	v_cmp_le_i32_e32 vcc_lo, v10, v30
	v_cmp_ge_i32_e64 s1, v10, v30
	v_add_co_ci_u32_e64 v2, null, 0, v2, vcc_lo
	v_add_co_ci_u32_e64 v9, null, 0, v9, s1
	s_andn2_b32 s1, s45, exec_lo
	v_cmp_ge_i32_e32 vcc_lo, v2, v20
	s_and_b32 s45, vcc_lo, exec_lo
	s_or_b32 s45, s1, s45
.LBB4_11:                               ;   in Loop: Header=BB4_12 Depth=3
	s_or_b32 exec_lo, exec_lo, s46
	s_and_b32 s1, exec_lo, s45
	s_or_b32 s44, s1, s44
	s_andn2_b32 exec_lo, exec_lo, s44
	s_cbranch_execz .LBB4_15
.LBB4_12:                               ;   Parent Loop BB4_4 Depth=1
                                        ;     Parent Loop BB4_8 Depth=2
                                        ; =>    This Inner Loop Header: Depth=3
	s_or_b32 s45, s45, exec_lo
	s_mov_b32 s46, exec_lo
	v_cmpx_lt_i32_e64 v9, v5
	s_cbranch_execz .LBB4_11
; %bb.13:                               ;   in Loop: Header=BB4_12 Depth=3
	v_mov_b32_e32 v10, v3
	v_lshlrev_b64 v[17:18], 2, v[2:3]
	s_mov_b32 s1, exec_lo
	v_lshlrev_b64 v[15:16], 2, v[9:10]
	v_add_co_u32 v30, vcc_lo, v21, v17
	v_add_co_ci_u32_e64 v31, null, v22, v18, vcc_lo
	v_add_co_u32 v32, vcc_lo, v26, v15
	v_add_co_ci_u32_e64 v33, null, v27, v16, vcc_lo
	global_load_dword v10, v[30:31], off
	global_load_dword v30, v[32:33], off
	s_waitcnt vmcnt(1)
	v_subrev_nc_u32_e32 v10, s40, v10
	s_waitcnt vmcnt(0)
	v_subrev_nc_u32_e32 v30, s4, v30
	v_cmpx_eq_u32_e64 v10, v30
	s_cbranch_execz .LBB4_10
; %bb.14:                               ;   in Loop: Header=BB4_12 Depth=3
	v_add_co_u32 v17, vcc_lo, v23, v17
	v_add_co_ci_u32_e64 v18, null, v24, v18, vcc_lo
	v_add_co_u32 v15, vcc_lo, v28, v15
	v_add_co_ci_u32_e64 v16, null, v29, v16, vcc_lo
	global_load_dword v17, v[17:18], off
	global_load_dword v15, v[15:16], off
	s_waitcnt vmcnt(0)
	v_fmac_f32_e32 v25, v17, v15
	s_branch .LBB4_10
.LBB4_15:                               ;   in Loop: Header=BB4_8 Depth=2
	s_or_b32 exec_lo, exec_lo, s44
.LBB4_16:                               ;   in Loop: Header=BB4_8 Depth=2
	s_or_b32 exec_lo, exec_lo, s43
	v_add_co_u32 v13, vcc_lo, s30, v13
	v_add_co_ci_u32_e64 v14, null, s31, v14, vcc_lo
	v_cmp_le_i32_e64 s1, v1, v7
	s_mov_b32 s43, exec_lo
	global_load_dword v10, v[13:14], off
	s_waitcnt vmcnt(0)
	v_sub_f32_e32 v13, v10, v25
	v_cmpx_gt_i32_e64 v1, v7
	s_cbranch_execz .LBB4_18
; %bb.17:                               ;   in Loop: Header=BB4_8 Depth=2
	v_add_co_u32 v14, vcc_lo, s36, v11
	v_add_co_ci_u32_e64 v15, null, s37, v12, vcc_lo
	global_load_dword v10, v[14:15], off
	s_waitcnt vmcnt(0)
	v_div_scale_f32 v14, null, v10, v10, v13
	v_rcp_f32_e32 v15, v14
	v_fma_f32 v16, -v14, v15, 1.0
	v_fmac_f32_e32 v15, v16, v15
	v_div_scale_f32 v16, vcc_lo, v13, v10, v13
	v_mul_f32_e32 v17, v16, v15
	v_fma_f32 v18, -v14, v17, v16
	v_fmac_f32_e32 v17, v18, v15
	v_fma_f32 v14, -v14, v17, v16
	v_div_fmas_f32 v14, v14, v15, v17
	v_div_fixup_f32 v13, v14, v10, v13
.LBB4_18:                               ;   in Loop: Header=BB4_8 Depth=2
	s_or_b32 exec_lo, exec_lo, s43
	v_cmp_class_f32_e64 s44, v13, 0x1f8
	s_and_saveexec_b32 s43, s44
	s_cbranch_execz .LBB4_7
; %bb.19:                               ;   in Loop: Header=BB4_8 Depth=2
	s_and_saveexec_b32 s44, s1
	s_xor_b32 s1, exec_lo, s44
	s_cbranch_execz .LBB4_32
; %bb.20:                               ;   in Loop: Header=BB4_8 Depth=2
	s_mov_b32 s44, exec_lo
	v_cmpx_ge_i32_e64 v1, v7
	s_xor_b32 s44, exec_lo, s44
	s_cbranch_execz .LBB4_22
; %bb.21:                               ;   in Loop: Header=BB4_8 Depth=2
	v_add_co_u32 v7, vcc_lo, s38, v11
	v_add_co_ci_u32_e64 v8, null, s39, v12, vcc_lo
                                        ; implicit-def: $vgpr9
                                        ; implicit-def: $vgpr5
	global_store_dword v[7:8], v13, off
                                        ; implicit-def: $vgpr13
                                        ; implicit-def: $vgpr8
.LBB4_22:                               ;   in Loop: Header=BB4_8 Depth=2
	s_andn2_saveexec_b32 s44, s44
	s_cbranch_execz .LBB4_31
; %bb.23:                               ;   in Loop: Header=BB4_8 Depth=2
	s_mov_b32 s45, exec_lo
	v_cmpx_lt_i32_e64 v9, v5
	s_cbranch_execz .LBB4_30
; %bb.24:                               ;   in Loop: Header=BB4_8 Depth=2
	s_mov_b32 s46, 0
                                        ; implicit-def: $sgpr47
                                        ; implicit-def: $sgpr49
                                        ; implicit-def: $sgpr48
	s_inst_prefetch 0x1
	s_branch .LBB4_26
	.p2align	6
.LBB4_25:                               ;   in Loop: Header=BB4_26 Depth=3
	s_or_b32 exec_lo, exec_lo, s50
	s_and_b32 s50, exec_lo, s49
	s_or_b32 s46, s50, s46
	s_andn2_b32 s47, s47, exec_lo
	s_and_b32 s50, s48, exec_lo
	s_or_b32 s47, s47, s50
	s_andn2_b32 exec_lo, exec_lo, s46
	s_cbranch_execz .LBB4_28
.LBB4_26:                               ;   Parent Loop BB4_4 Depth=1
                                        ;     Parent Loop BB4_8 Depth=2
                                        ; =>    This Inner Loop Header: Depth=3
	v_add_nc_u32_e32 v10, v8, v9
	s_or_b32 s48, s48, exec_lo
	s_or_b32 s49, s49, exec_lo
	s_mov_b32 s50, exec_lo
	v_ashrrev_i32_e32 v11, 31, v10
	v_lshlrev_b64 v[10:11], 2, v[10:11]
	v_add_co_u32 v14, vcc_lo, s12, v10
	v_add_co_ci_u32_e64 v15, null, s13, v11, vcc_lo
	global_load_dword v2, v[14:15], off
	s_waitcnt vmcnt(0)
	v_subrev_nc_u32_e32 v2, s4, v2
	v_cmpx_ne_u32_e64 v2, v1
	s_cbranch_execz .LBB4_25
; %bb.27:                               ;   in Loop: Header=BB4_26 Depth=3
	v_add_nc_u32_e32 v9, 1, v9
	s_andn2_b32 s49, s49, exec_lo
	s_andn2_b32 s48, s48, exec_lo
	v_cmp_ge_i32_e32 vcc_lo, v9, v5
	s_and_b32 s51, vcc_lo, exec_lo
	s_or_b32 s49, s49, s51
	s_branch .LBB4_25
.LBB4_28:                               ;   in Loop: Header=BB4_8 Depth=2
	s_inst_prefetch 0x2
	s_or_b32 exec_lo, exec_lo, s46
	s_and_saveexec_b32 s46, s47
	s_xor_b32 s46, exec_lo, s46
	s_cbranch_execz .LBB4_30
; %bb.29:                               ;   in Loop: Header=BB4_8 Depth=2
	v_add_co_u32 v7, vcc_lo, s6, v10
	v_add_co_ci_u32_e64 v8, null, s7, v11, vcc_lo
	global_store_dword v[7:8], v13, off
.LBB4_30:                               ;   in Loop: Header=BB4_8 Depth=2
	s_or_b32 exec_lo, exec_lo, s45
.LBB4_31:                               ;   in Loop: Header=BB4_8 Depth=2
	s_or_b32 exec_lo, exec_lo, s44
                                        ; implicit-def: $vgpr13
                                        ; implicit-def: $vgpr7_vgpr8
.LBB4_32:                               ;   in Loop: Header=BB4_8 Depth=2
	s_andn2_saveexec_b32 s1, s1
	s_cbranch_execz .LBB4_7
; %bb.33:                               ;   in Loop: Header=BB4_8 Depth=2
	v_cmp_lt_i32_e32 vcc_lo, v2, v20
	s_and_b32 exec_lo, exec_lo, vcc_lo
	s_cbranch_execz .LBB4_7
; %bb.34:                               ;   in Loop: Header=BB4_8 Depth=2
	s_mov_b32 s1, 0
                                        ; implicit-def: $sgpr44
                                        ; implicit-def: $sgpr46
                                        ; implicit-def: $sgpr45
	s_inst_prefetch 0x1
	s_branch .LBB4_36
	.p2align	6
.LBB4_35:                               ;   in Loop: Header=BB4_36 Depth=3
	s_or_b32 exec_lo, exec_lo, s47
	s_and_b32 s47, exec_lo, s46
	s_or_b32 s1, s47, s1
	s_andn2_b32 s44, s44, exec_lo
	s_and_b32 s47, s45, exec_lo
	s_or_b32 s44, s44, s47
	s_andn2_b32 exec_lo, exec_lo, s1
	s_cbranch_execz .LBB4_38
.LBB4_36:                               ;   Parent Loop BB4_4 Depth=1
                                        ;     Parent Loop BB4_8 Depth=2
                                        ; =>    This Inner Loop Header: Depth=3
	v_add_nc_u32_e32 v8, v6, v2
	s_or_b32 s45, s45, exec_lo
	s_or_b32 s46, s46, exec_lo
	s_mov_b32 s47, exec_lo
	v_ashrrev_i32_e32 v9, 31, v8
	v_lshlrev_b64 v[8:9], 2, v[8:9]
	v_add_co_u32 v10, vcc_lo, s20, v8
	v_add_co_ci_u32_e64 v11, null, s21, v9, vcc_lo
	global_load_dword v5, v[10:11], off
	s_waitcnt vmcnt(0)
	v_subrev_nc_u32_e32 v5, s40, v5
	v_cmpx_ne_u32_e64 v5, v7
	s_cbranch_execz .LBB4_35
; %bb.37:                               ;   in Loop: Header=BB4_36 Depth=3
	v_add_nc_u32_e32 v2, 1, v2
	s_andn2_b32 s46, s46, exec_lo
	s_andn2_b32 s45, s45, exec_lo
	v_cmp_ge_i32_e32 vcc_lo, v2, v20
	s_and_b32 s48, vcc_lo, exec_lo
	s_or_b32 s46, s46, s48
	s_branch .LBB4_35
.LBB4_38:                               ;   in Loop: Header=BB4_8 Depth=2
	s_inst_prefetch 0x2
	s_or_b32 exec_lo, exec_lo, s1
	s_and_saveexec_b32 s1, s44
	s_xor_b32 s1, exec_lo, s1
	s_cbranch_execz .LBB4_7
; %bb.39:                               ;   in Loop: Header=BB4_8 Depth=2
	v_add_co_u32 v7, vcc_lo, s2, v8
	v_add_co_ci_u32_e64 v8, null, s3, v9, vcc_lo
	global_store_dword v[7:8], v13, off
	s_branch .LBB4_7
.LBB4_40:
	s_endpgm
	.section	.rodata,"a",@progbits
	.p2align	6, 0x0
	.amdhsa_kernel _ZN9rocsparseL17kernel_correctionILi1024ELi16EfiiEEvT3_T2_PKS2_S4_PKS1_PKT1_21rocsparse_index_base_S4_S4_S6_S9_PS7_SA_S4_S4_S6_S9_SB_SA_S9_SB_
		.amdhsa_group_segment_fixed_size 0
		.amdhsa_private_segment_fixed_size 0
		.amdhsa_kernarg_size 160
		.amdhsa_user_sgpr_count 6
		.amdhsa_user_sgpr_private_segment_buffer 1
		.amdhsa_user_sgpr_dispatch_ptr 0
		.amdhsa_user_sgpr_queue_ptr 0
		.amdhsa_user_sgpr_kernarg_segment_ptr 1
		.amdhsa_user_sgpr_dispatch_id 0
		.amdhsa_user_sgpr_flat_scratch_init 0
		.amdhsa_user_sgpr_private_segment_size 0
		.amdhsa_wavefront_size32 1
		.amdhsa_uses_dynamic_stack 0
		.amdhsa_system_sgpr_private_segment_wavefront_offset 0
		.amdhsa_system_sgpr_workgroup_id_x 1
		.amdhsa_system_sgpr_workgroup_id_y 0
		.amdhsa_system_sgpr_workgroup_id_z 0
		.amdhsa_system_sgpr_workgroup_info 0
		.amdhsa_system_vgpr_workitem_id 0
		.amdhsa_next_free_vgpr 34
		.amdhsa_next_free_sgpr 52
		.amdhsa_reserve_vcc 1
		.amdhsa_reserve_flat_scratch 0
		.amdhsa_float_round_mode_32 0
		.amdhsa_float_round_mode_16_64 0
		.amdhsa_float_denorm_mode_32 3
		.amdhsa_float_denorm_mode_16_64 3
		.amdhsa_dx10_clamp 1
		.amdhsa_ieee_mode 1
		.amdhsa_fp16_overflow 0
		.amdhsa_workgroup_processor_mode 1
		.amdhsa_memory_ordered 1
		.amdhsa_forward_progress 1
		.amdhsa_shared_vgpr_count 0
		.amdhsa_exception_fp_ieee_invalid_op 0
		.amdhsa_exception_fp_denorm_src 0
		.amdhsa_exception_fp_ieee_div_zero 0
		.amdhsa_exception_fp_ieee_overflow 0
		.amdhsa_exception_fp_ieee_underflow 0
		.amdhsa_exception_fp_ieee_inexact 0
		.amdhsa_exception_int_div_zero 0
	.end_amdhsa_kernel
	.section	.text._ZN9rocsparseL17kernel_correctionILi1024ELi16EfiiEEvT3_T2_PKS2_S4_PKS1_PKT1_21rocsparse_index_base_S4_S4_S6_S9_PS7_SA_S4_S4_S6_S9_SB_SA_S9_SB_,"axG",@progbits,_ZN9rocsparseL17kernel_correctionILi1024ELi16EfiiEEvT3_T2_PKS2_S4_PKS1_PKT1_21rocsparse_index_base_S4_S4_S6_S9_PS7_SA_S4_S4_S6_S9_SB_SA_S9_SB_,comdat
.Lfunc_end4:
	.size	_ZN9rocsparseL17kernel_correctionILi1024ELi16EfiiEEvT3_T2_PKS2_S4_PKS1_PKT1_21rocsparse_index_base_S4_S4_S6_S9_PS7_SA_S4_S4_S6_S9_SB_SA_S9_SB_, .Lfunc_end4-_ZN9rocsparseL17kernel_correctionILi1024ELi16EfiiEEvT3_T2_PKS2_S4_PKS1_PKT1_21rocsparse_index_base_S4_S4_S6_S9_PS7_SA_S4_S4_S6_S9_SB_SA_S9_SB_
                                        ; -- End function
	.set _ZN9rocsparseL17kernel_correctionILi1024ELi16EfiiEEvT3_T2_PKS2_S4_PKS1_PKT1_21rocsparse_index_base_S4_S4_S6_S9_PS7_SA_S4_S4_S6_S9_SB_SA_S9_SB_.num_vgpr, 34
	.set _ZN9rocsparseL17kernel_correctionILi1024ELi16EfiiEEvT3_T2_PKS2_S4_PKS1_PKT1_21rocsparse_index_base_S4_S4_S6_S9_PS7_SA_S4_S4_S6_S9_SB_SA_S9_SB_.num_agpr, 0
	.set _ZN9rocsparseL17kernel_correctionILi1024ELi16EfiiEEvT3_T2_PKS2_S4_PKS1_PKT1_21rocsparse_index_base_S4_S4_S6_S9_PS7_SA_S4_S4_S6_S9_SB_SA_S9_SB_.numbered_sgpr, 52
	.set _ZN9rocsparseL17kernel_correctionILi1024ELi16EfiiEEvT3_T2_PKS2_S4_PKS1_PKT1_21rocsparse_index_base_S4_S4_S6_S9_PS7_SA_S4_S4_S6_S9_SB_SA_S9_SB_.num_named_barrier, 0
	.set _ZN9rocsparseL17kernel_correctionILi1024ELi16EfiiEEvT3_T2_PKS2_S4_PKS1_PKT1_21rocsparse_index_base_S4_S4_S6_S9_PS7_SA_S4_S4_S6_S9_SB_SA_S9_SB_.private_seg_size, 0
	.set _ZN9rocsparseL17kernel_correctionILi1024ELi16EfiiEEvT3_T2_PKS2_S4_PKS1_PKT1_21rocsparse_index_base_S4_S4_S6_S9_PS7_SA_S4_S4_S6_S9_SB_SA_S9_SB_.uses_vcc, 1
	.set _ZN9rocsparseL17kernel_correctionILi1024ELi16EfiiEEvT3_T2_PKS2_S4_PKS1_PKT1_21rocsparse_index_base_S4_S4_S6_S9_PS7_SA_S4_S4_S6_S9_SB_SA_S9_SB_.uses_flat_scratch, 0
	.set _ZN9rocsparseL17kernel_correctionILi1024ELi16EfiiEEvT3_T2_PKS2_S4_PKS1_PKT1_21rocsparse_index_base_S4_S4_S6_S9_PS7_SA_S4_S4_S6_S9_SB_SA_S9_SB_.has_dyn_sized_stack, 0
	.set _ZN9rocsparseL17kernel_correctionILi1024ELi16EfiiEEvT3_T2_PKS2_S4_PKS1_PKT1_21rocsparse_index_base_S4_S4_S6_S9_PS7_SA_S4_S4_S6_S9_SB_SA_S9_SB_.has_recursion, 0
	.set _ZN9rocsparseL17kernel_correctionILi1024ELi16EfiiEEvT3_T2_PKS2_S4_PKS1_PKT1_21rocsparse_index_base_S4_S4_S6_S9_PS7_SA_S4_S4_S6_S9_SB_SA_S9_SB_.has_indirect_call, 0
	.section	.AMDGPU.csdata,"",@progbits
; Kernel info:
; codeLenInByte = 1656
; TotalNumSgprs: 54
; NumVgprs: 34
; ScratchSize: 0
; MemoryBound: 0
; FloatMode: 240
; IeeeMode: 1
; LDSByteSize: 0 bytes/workgroup (compile time only)
; SGPRBlocks: 0
; VGPRBlocks: 4
; NumSGPRsForWavesPerEU: 54
; NumVGPRsForWavesPerEU: 34
; Occupancy: 16
; WaveLimiterHint : 1
; COMPUTE_PGM_RSRC2:SCRATCH_EN: 0
; COMPUTE_PGM_RSRC2:USER_SGPR: 6
; COMPUTE_PGM_RSRC2:TRAP_HANDLER: 0
; COMPUTE_PGM_RSRC2:TGID_X_EN: 1
; COMPUTE_PGM_RSRC2:TGID_Y_EN: 0
; COMPUTE_PGM_RSRC2:TGID_Z_EN: 0
; COMPUTE_PGM_RSRC2:TIDIG_COMP_CNT: 0
	.section	.text._ZN9rocsparseL17kernel_correctionILi1024ELi32EfiiEEvT3_T2_PKS2_S4_PKS1_PKT1_21rocsparse_index_base_S4_S4_S6_S9_PS7_SA_S4_S4_S6_S9_SB_SA_S9_SB_,"axG",@progbits,_ZN9rocsparseL17kernel_correctionILi1024ELi32EfiiEEvT3_T2_PKS2_S4_PKS1_PKT1_21rocsparse_index_base_S4_S4_S6_S9_PS7_SA_S4_S4_S6_S9_SB_SA_S9_SB_,comdat
	.globl	_ZN9rocsparseL17kernel_correctionILi1024ELi32EfiiEEvT3_T2_PKS2_S4_PKS1_PKT1_21rocsparse_index_base_S4_S4_S6_S9_PS7_SA_S4_S4_S6_S9_SB_SA_S9_SB_ ; -- Begin function _ZN9rocsparseL17kernel_correctionILi1024ELi32EfiiEEvT3_T2_PKS2_S4_PKS1_PKT1_21rocsparse_index_base_S4_S4_S6_S9_PS7_SA_S4_S4_S6_S9_SB_SA_S9_SB_
	.p2align	8
	.type	_ZN9rocsparseL17kernel_correctionILi1024ELi32EfiiEEvT3_T2_PKS2_S4_PKS1_PKT1_21rocsparse_index_base_S4_S4_S6_S9_PS7_SA_S4_S4_S6_S9_SB_SA_S9_SB_,@function
_ZN9rocsparseL17kernel_correctionILi1024ELi32EfiiEEvT3_T2_PKS2_S4_PKS1_PKT1_21rocsparse_index_base_S4_S4_S6_S9_PS7_SA_S4_S4_S6_S9_SB_SA_S9_SB_: ; @_ZN9rocsparseL17kernel_correctionILi1024ELi32EfiiEEvT3_T2_PKS2_S4_PKS1_PKT1_21rocsparse_index_base_S4_S4_S6_S9_PS7_SA_S4_S4_S6_S9_SB_SA_S9_SB_
; %bb.0:
	s_load_dword s33, s[4:5], 0x0
	v_lshrrev_b32_e32 v1, 5, v0
	s_lshl_b32 s34, s6, 10
	s_mov_b32 s0, exec_lo
	v_or_b32_e32 v1, s34, v1
	s_waitcnt lgkmcnt(0)
	v_cmpx_gt_i32_e64 s33, v1
	s_cbranch_execz .LBB5_40
; %bb.1:
	s_addk_i32 s34, 0x400
	v_cmp_gt_u32_e32 vcc_lo, s34, v1
	s_and_b32 exec_lo, exec_lo, vcc_lo
	s_cbranch_execz .LBB5_40
; %bb.2:
	s_clause 0x8
	s_load_dwordx4 s[36:39], s[4:5], 0x90
	s_load_dwordx8 s[8:15], s[4:5], 0x60
	s_load_dword s35, s[4:5], 0x28
	s_load_dwordx8 s[16:23], s[4:5], 0x30
	s_load_dwordx8 s[24:31], s[4:5], 0x8
	s_load_dwordx2 s[2:3], s[4:5], 0x50
	s_load_dword s40, s[4:5], 0x58
	s_load_dwordx2 s[6:7], s[4:5], 0x80
	s_load_dword s4, s[4:5], 0x88
	v_and_b32_e32 v0, 31, v0
	v_mov_b32_e32 v3, 0
	s_mov_b32 s5, 0
	s_waitcnt lgkmcnt(0)
	v_subrev_nc_u32_e32 v0, s35, v0
	s_branch .LBB5_4
.LBB5_3:                                ;   in Loop: Header=BB5_4 Depth=1
	s_or_b32 exec_lo, exec_lo, s41
	v_add_nc_u32_e32 v1, 32, v1
	v_cmp_le_u32_e32 vcc_lo, s34, v1
	s_or_b32 s5, vcc_lo, s5
	s_andn2_b32 exec_lo, exec_lo, s5
	s_cbranch_execz .LBB5_40
.LBB5_4:                                ; =>This Loop Header: Depth=1
                                        ;     Child Loop BB5_8 Depth 2
                                        ;       Child Loop BB5_12 Depth 3
                                        ;       Child Loop BB5_26 Depth 3
	;; [unrolled: 1-line block ×3, first 2 shown]
	s_mov_b32 s41, exec_lo
	v_cmpx_gt_i32_e64 s33, v1
	s_cbranch_execz .LBB5_3
; %bb.5:                                ;   in Loop: Header=BB5_4 Depth=1
	v_ashrrev_i32_e32 v2, 31, v1
	v_lshlrev_b64 v[5:6], 2, v[1:2]
	v_add_co_u32 v7, vcc_lo, s24, v5
	v_add_co_ci_u32_e64 v8, null, s25, v6, vcc_lo
	v_add_co_u32 v9, vcc_lo, s26, v5
	v_add_co_ci_u32_e64 v10, null, s27, v6, vcc_lo
	global_load_dword v2, v[7:8], off
	global_load_dword v7, v[9:10], off
	s_waitcnt vmcnt(1)
	v_add_nc_u32_e32 v4, v0, v2
	s_waitcnt vmcnt(0)
	v_subrev_nc_u32_e32 v19, s35, v7
	v_cmp_lt_i32_e32 vcc_lo, v4, v19
	s_and_b32 exec_lo, exec_lo, vcc_lo
	s_cbranch_execz .LBB5_3
; %bb.6:                                ;   in Loop: Header=BB5_4 Depth=1
	v_add_co_u32 v7, vcc_lo, s16, v5
	v_add_co_ci_u32_e64 v8, null, s17, v6, vcc_lo
	v_add_co_u32 v5, vcc_lo, s18, v5
	v_add_co_ci_u32_e64 v6, null, s19, v6, vcc_lo
	global_load_dword v2, v[7:8], off
	s_mov_b32 s42, 0
	global_load_dword v5, v[5:6], off
	s_waitcnt vmcnt(1)
	v_subrev_nc_u32_e32 v6, s40, v2
	s_waitcnt vmcnt(0)
	v_sub_nc_u32_e32 v20, v5, v2
	v_ashrrev_i32_e32 v7, 31, v6
	v_cmp_lt_i32_e64 s0, 0, v20
	v_lshlrev_b64 v[7:8], 2, v[6:7]
	v_add_co_u32 v21, vcc_lo, s20, v7
	v_add_co_ci_u32_e64 v22, null, s21, v8, vcc_lo
	v_add_co_u32 v23, vcc_lo, s22, v7
	v_add_co_ci_u32_e64 v24, null, s23, v8, vcc_lo
	s_branch .LBB5_8
.LBB5_7:                                ;   in Loop: Header=BB5_8 Depth=2
	s_or_b32 exec_lo, exec_lo, s43
	v_add_nc_u32_e32 v4, 32, v4
	v_cmp_ge_i32_e32 vcc_lo, v4, v19
	s_or_b32 s42, vcc_lo, s42
	s_andn2_b32 exec_lo, exec_lo, s42
	s_cbranch_execz .LBB5_3
.LBB5_8:                                ;   Parent Loop BB5_4 Depth=1
                                        ; =>  This Loop Header: Depth=2
                                        ;       Child Loop BB5_12 Depth 3
                                        ;       Child Loop BB5_26 Depth 3
	;; [unrolled: 1-line block ×3, first 2 shown]
	v_ashrrev_i32_e32 v5, 31, v4
	v_mov_b32_e32 v25, 0
	v_lshlrev_b64 v[13:14], 2, v[4:5]
	v_add_co_u32 v7, vcc_lo, s28, v13
	v_add_co_ci_u32_e64 v8, null, s29, v14, vcc_lo
	global_load_dword v2, v[7:8], off
	s_waitcnt vmcnt(0)
	v_subrev_nc_u32_e32 v7, s35, v2
	v_ashrrev_i32_e32 v8, 31, v7
	v_lshlrev_b64 v[11:12], 2, v[7:8]
	v_add_co_u32 v8, vcc_lo, s8, v11
	v_add_co_ci_u32_e64 v9, null, s9, v12, vcc_lo
	v_add_co_u32 v15, vcc_lo, s10, v11
	v_add_co_ci_u32_e64 v16, null, s11, v12, vcc_lo
	global_load_dword v2, v[8:9], off
	global_load_dword v5, v[15:16], off
	v_mov_b32_e32 v9, 0
	s_waitcnt vmcnt(1)
	v_subrev_nc_u32_e32 v8, s4, v2
	s_waitcnt vmcnt(0)
	v_sub_nc_u32_e32 v5, v5, v2
	v_mov_b32_e32 v2, v9
	s_and_saveexec_b32 s43, s0
	s_cbranch_execz .LBB5_16
; %bb.9:                                ;   in Loop: Header=BB5_8 Depth=2
	v_ashrrev_i32_e32 v9, 31, v8
	v_mov_b32_e32 v25, 0
	v_mov_b32_e32 v2, 0
	s_mov_b32 s44, 0
                                        ; implicit-def: $sgpr45
	v_lshlrev_b64 v[9:10], 2, v[8:9]
	v_add_co_u32 v26, vcc_lo, s12, v9
	v_add_co_ci_u32_e64 v27, null, s13, v10, vcc_lo
	v_add_co_u32 v28, vcc_lo, s14, v9
	v_add_co_ci_u32_e64 v29, null, s15, v10, vcc_lo
	v_mov_b32_e32 v9, 0
	s_branch .LBB5_12
.LBB5_10:                               ;   in Loop: Header=BB5_12 Depth=3
	s_or_b32 exec_lo, exec_lo, s1
	v_cmp_le_i32_e32 vcc_lo, v10, v30
	v_cmp_ge_i32_e64 s1, v10, v30
	v_add_co_ci_u32_e64 v2, null, 0, v2, vcc_lo
	v_add_co_ci_u32_e64 v9, null, 0, v9, s1
	s_andn2_b32 s1, s45, exec_lo
	v_cmp_ge_i32_e32 vcc_lo, v2, v20
	s_and_b32 s45, vcc_lo, exec_lo
	s_or_b32 s45, s1, s45
.LBB5_11:                               ;   in Loop: Header=BB5_12 Depth=3
	s_or_b32 exec_lo, exec_lo, s46
	s_and_b32 s1, exec_lo, s45
	s_or_b32 s44, s1, s44
	s_andn2_b32 exec_lo, exec_lo, s44
	s_cbranch_execz .LBB5_15
.LBB5_12:                               ;   Parent Loop BB5_4 Depth=1
                                        ;     Parent Loop BB5_8 Depth=2
                                        ; =>    This Inner Loop Header: Depth=3
	s_or_b32 s45, s45, exec_lo
	s_mov_b32 s46, exec_lo
	v_cmpx_lt_i32_e64 v9, v5
	s_cbranch_execz .LBB5_11
; %bb.13:                               ;   in Loop: Header=BB5_12 Depth=3
	v_mov_b32_e32 v10, v3
	v_lshlrev_b64 v[17:18], 2, v[2:3]
	s_mov_b32 s1, exec_lo
	v_lshlrev_b64 v[15:16], 2, v[9:10]
	v_add_co_u32 v30, vcc_lo, v21, v17
	v_add_co_ci_u32_e64 v31, null, v22, v18, vcc_lo
	v_add_co_u32 v32, vcc_lo, v26, v15
	v_add_co_ci_u32_e64 v33, null, v27, v16, vcc_lo
	global_load_dword v10, v[30:31], off
	global_load_dword v30, v[32:33], off
	s_waitcnt vmcnt(1)
	v_subrev_nc_u32_e32 v10, s40, v10
	s_waitcnt vmcnt(0)
	v_subrev_nc_u32_e32 v30, s4, v30
	v_cmpx_eq_u32_e64 v10, v30
	s_cbranch_execz .LBB5_10
; %bb.14:                               ;   in Loop: Header=BB5_12 Depth=3
	v_add_co_u32 v17, vcc_lo, v23, v17
	v_add_co_ci_u32_e64 v18, null, v24, v18, vcc_lo
	v_add_co_u32 v15, vcc_lo, v28, v15
	v_add_co_ci_u32_e64 v16, null, v29, v16, vcc_lo
	global_load_dword v17, v[17:18], off
	global_load_dword v15, v[15:16], off
	s_waitcnt vmcnt(0)
	v_fmac_f32_e32 v25, v17, v15
	s_branch .LBB5_10
.LBB5_15:                               ;   in Loop: Header=BB5_8 Depth=2
	s_or_b32 exec_lo, exec_lo, s44
.LBB5_16:                               ;   in Loop: Header=BB5_8 Depth=2
	s_or_b32 exec_lo, exec_lo, s43
	v_add_co_u32 v13, vcc_lo, s30, v13
	v_add_co_ci_u32_e64 v14, null, s31, v14, vcc_lo
	v_cmp_le_i32_e64 s1, v1, v7
	s_mov_b32 s43, exec_lo
	global_load_dword v10, v[13:14], off
	s_waitcnt vmcnt(0)
	v_sub_f32_e32 v13, v10, v25
	v_cmpx_gt_i32_e64 v1, v7
	s_cbranch_execz .LBB5_18
; %bb.17:                               ;   in Loop: Header=BB5_8 Depth=2
	v_add_co_u32 v14, vcc_lo, s36, v11
	v_add_co_ci_u32_e64 v15, null, s37, v12, vcc_lo
	global_load_dword v10, v[14:15], off
	s_waitcnt vmcnt(0)
	v_div_scale_f32 v14, null, v10, v10, v13
	v_rcp_f32_e32 v15, v14
	v_fma_f32 v16, -v14, v15, 1.0
	v_fmac_f32_e32 v15, v16, v15
	v_div_scale_f32 v16, vcc_lo, v13, v10, v13
	v_mul_f32_e32 v17, v16, v15
	v_fma_f32 v18, -v14, v17, v16
	v_fmac_f32_e32 v17, v18, v15
	v_fma_f32 v14, -v14, v17, v16
	v_div_fmas_f32 v14, v14, v15, v17
	v_div_fixup_f32 v13, v14, v10, v13
.LBB5_18:                               ;   in Loop: Header=BB5_8 Depth=2
	s_or_b32 exec_lo, exec_lo, s43
	v_cmp_class_f32_e64 s44, v13, 0x1f8
	s_and_saveexec_b32 s43, s44
	s_cbranch_execz .LBB5_7
; %bb.19:                               ;   in Loop: Header=BB5_8 Depth=2
	s_and_saveexec_b32 s44, s1
	s_xor_b32 s1, exec_lo, s44
	s_cbranch_execz .LBB5_32
; %bb.20:                               ;   in Loop: Header=BB5_8 Depth=2
	s_mov_b32 s44, exec_lo
	v_cmpx_ge_i32_e64 v1, v7
	s_xor_b32 s44, exec_lo, s44
	s_cbranch_execz .LBB5_22
; %bb.21:                               ;   in Loop: Header=BB5_8 Depth=2
	v_add_co_u32 v7, vcc_lo, s38, v11
	v_add_co_ci_u32_e64 v8, null, s39, v12, vcc_lo
                                        ; implicit-def: $vgpr9
                                        ; implicit-def: $vgpr5
	global_store_dword v[7:8], v13, off
                                        ; implicit-def: $vgpr13
                                        ; implicit-def: $vgpr8
.LBB5_22:                               ;   in Loop: Header=BB5_8 Depth=2
	s_andn2_saveexec_b32 s44, s44
	s_cbranch_execz .LBB5_31
; %bb.23:                               ;   in Loop: Header=BB5_8 Depth=2
	s_mov_b32 s45, exec_lo
	v_cmpx_lt_i32_e64 v9, v5
	s_cbranch_execz .LBB5_30
; %bb.24:                               ;   in Loop: Header=BB5_8 Depth=2
	s_mov_b32 s46, 0
                                        ; implicit-def: $sgpr47
                                        ; implicit-def: $sgpr49
                                        ; implicit-def: $sgpr48
	s_inst_prefetch 0x1
	s_branch .LBB5_26
	.p2align	6
.LBB5_25:                               ;   in Loop: Header=BB5_26 Depth=3
	s_or_b32 exec_lo, exec_lo, s50
	s_and_b32 s50, exec_lo, s49
	s_or_b32 s46, s50, s46
	s_andn2_b32 s47, s47, exec_lo
	s_and_b32 s50, s48, exec_lo
	s_or_b32 s47, s47, s50
	s_andn2_b32 exec_lo, exec_lo, s46
	s_cbranch_execz .LBB5_28
.LBB5_26:                               ;   Parent Loop BB5_4 Depth=1
                                        ;     Parent Loop BB5_8 Depth=2
                                        ; =>    This Inner Loop Header: Depth=3
	v_add_nc_u32_e32 v10, v8, v9
	s_or_b32 s48, s48, exec_lo
	s_or_b32 s49, s49, exec_lo
	s_mov_b32 s50, exec_lo
	v_ashrrev_i32_e32 v11, 31, v10
	v_lshlrev_b64 v[10:11], 2, v[10:11]
	v_add_co_u32 v14, vcc_lo, s12, v10
	v_add_co_ci_u32_e64 v15, null, s13, v11, vcc_lo
	global_load_dword v2, v[14:15], off
	s_waitcnt vmcnt(0)
	v_subrev_nc_u32_e32 v2, s4, v2
	v_cmpx_ne_u32_e64 v2, v1
	s_cbranch_execz .LBB5_25
; %bb.27:                               ;   in Loop: Header=BB5_26 Depth=3
	v_add_nc_u32_e32 v9, 1, v9
	s_andn2_b32 s49, s49, exec_lo
	s_andn2_b32 s48, s48, exec_lo
	v_cmp_ge_i32_e32 vcc_lo, v9, v5
	s_and_b32 s51, vcc_lo, exec_lo
	s_or_b32 s49, s49, s51
	s_branch .LBB5_25
.LBB5_28:                               ;   in Loop: Header=BB5_8 Depth=2
	s_inst_prefetch 0x2
	s_or_b32 exec_lo, exec_lo, s46
	s_and_saveexec_b32 s46, s47
	s_xor_b32 s46, exec_lo, s46
	s_cbranch_execz .LBB5_30
; %bb.29:                               ;   in Loop: Header=BB5_8 Depth=2
	v_add_co_u32 v7, vcc_lo, s6, v10
	v_add_co_ci_u32_e64 v8, null, s7, v11, vcc_lo
	global_store_dword v[7:8], v13, off
.LBB5_30:                               ;   in Loop: Header=BB5_8 Depth=2
	s_or_b32 exec_lo, exec_lo, s45
.LBB5_31:                               ;   in Loop: Header=BB5_8 Depth=2
	s_or_b32 exec_lo, exec_lo, s44
                                        ; implicit-def: $vgpr13
                                        ; implicit-def: $vgpr7_vgpr8
.LBB5_32:                               ;   in Loop: Header=BB5_8 Depth=2
	s_andn2_saveexec_b32 s1, s1
	s_cbranch_execz .LBB5_7
; %bb.33:                               ;   in Loop: Header=BB5_8 Depth=2
	v_cmp_lt_i32_e32 vcc_lo, v2, v20
	s_and_b32 exec_lo, exec_lo, vcc_lo
	s_cbranch_execz .LBB5_7
; %bb.34:                               ;   in Loop: Header=BB5_8 Depth=2
	s_mov_b32 s1, 0
                                        ; implicit-def: $sgpr44
                                        ; implicit-def: $sgpr46
                                        ; implicit-def: $sgpr45
	s_inst_prefetch 0x1
	s_branch .LBB5_36
	.p2align	6
.LBB5_35:                               ;   in Loop: Header=BB5_36 Depth=3
	s_or_b32 exec_lo, exec_lo, s47
	s_and_b32 s47, exec_lo, s46
	s_or_b32 s1, s47, s1
	s_andn2_b32 s44, s44, exec_lo
	s_and_b32 s47, s45, exec_lo
	s_or_b32 s44, s44, s47
	s_andn2_b32 exec_lo, exec_lo, s1
	s_cbranch_execz .LBB5_38
.LBB5_36:                               ;   Parent Loop BB5_4 Depth=1
                                        ;     Parent Loop BB5_8 Depth=2
                                        ; =>    This Inner Loop Header: Depth=3
	v_add_nc_u32_e32 v8, v6, v2
	s_or_b32 s45, s45, exec_lo
	s_or_b32 s46, s46, exec_lo
	s_mov_b32 s47, exec_lo
	v_ashrrev_i32_e32 v9, 31, v8
	v_lshlrev_b64 v[8:9], 2, v[8:9]
	v_add_co_u32 v10, vcc_lo, s20, v8
	v_add_co_ci_u32_e64 v11, null, s21, v9, vcc_lo
	global_load_dword v5, v[10:11], off
	s_waitcnt vmcnt(0)
	v_subrev_nc_u32_e32 v5, s40, v5
	v_cmpx_ne_u32_e64 v5, v7
	s_cbranch_execz .LBB5_35
; %bb.37:                               ;   in Loop: Header=BB5_36 Depth=3
	v_add_nc_u32_e32 v2, 1, v2
	s_andn2_b32 s46, s46, exec_lo
	s_andn2_b32 s45, s45, exec_lo
	v_cmp_ge_i32_e32 vcc_lo, v2, v20
	s_and_b32 s48, vcc_lo, exec_lo
	s_or_b32 s46, s46, s48
	s_branch .LBB5_35
.LBB5_38:                               ;   in Loop: Header=BB5_8 Depth=2
	s_inst_prefetch 0x2
	s_or_b32 exec_lo, exec_lo, s1
	s_and_saveexec_b32 s1, s44
	s_xor_b32 s1, exec_lo, s1
	s_cbranch_execz .LBB5_7
; %bb.39:                               ;   in Loop: Header=BB5_8 Depth=2
	v_add_co_u32 v7, vcc_lo, s2, v8
	v_add_co_ci_u32_e64 v8, null, s3, v9, vcc_lo
	global_store_dword v[7:8], v13, off
	s_branch .LBB5_7
.LBB5_40:
	s_endpgm
	.section	.rodata,"a",@progbits
	.p2align	6, 0x0
	.amdhsa_kernel _ZN9rocsparseL17kernel_correctionILi1024ELi32EfiiEEvT3_T2_PKS2_S4_PKS1_PKT1_21rocsparse_index_base_S4_S4_S6_S9_PS7_SA_S4_S4_S6_S9_SB_SA_S9_SB_
		.amdhsa_group_segment_fixed_size 0
		.amdhsa_private_segment_fixed_size 0
		.amdhsa_kernarg_size 160
		.amdhsa_user_sgpr_count 6
		.amdhsa_user_sgpr_private_segment_buffer 1
		.amdhsa_user_sgpr_dispatch_ptr 0
		.amdhsa_user_sgpr_queue_ptr 0
		.amdhsa_user_sgpr_kernarg_segment_ptr 1
		.amdhsa_user_sgpr_dispatch_id 0
		.amdhsa_user_sgpr_flat_scratch_init 0
		.amdhsa_user_sgpr_private_segment_size 0
		.amdhsa_wavefront_size32 1
		.amdhsa_uses_dynamic_stack 0
		.amdhsa_system_sgpr_private_segment_wavefront_offset 0
		.amdhsa_system_sgpr_workgroup_id_x 1
		.amdhsa_system_sgpr_workgroup_id_y 0
		.amdhsa_system_sgpr_workgroup_id_z 0
		.amdhsa_system_sgpr_workgroup_info 0
		.amdhsa_system_vgpr_workitem_id 0
		.amdhsa_next_free_vgpr 34
		.amdhsa_next_free_sgpr 52
		.amdhsa_reserve_vcc 1
		.amdhsa_reserve_flat_scratch 0
		.amdhsa_float_round_mode_32 0
		.amdhsa_float_round_mode_16_64 0
		.amdhsa_float_denorm_mode_32 3
		.amdhsa_float_denorm_mode_16_64 3
		.amdhsa_dx10_clamp 1
		.amdhsa_ieee_mode 1
		.amdhsa_fp16_overflow 0
		.amdhsa_workgroup_processor_mode 1
		.amdhsa_memory_ordered 1
		.amdhsa_forward_progress 1
		.amdhsa_shared_vgpr_count 0
		.amdhsa_exception_fp_ieee_invalid_op 0
		.amdhsa_exception_fp_denorm_src 0
		.amdhsa_exception_fp_ieee_div_zero 0
		.amdhsa_exception_fp_ieee_overflow 0
		.amdhsa_exception_fp_ieee_underflow 0
		.amdhsa_exception_fp_ieee_inexact 0
		.amdhsa_exception_int_div_zero 0
	.end_amdhsa_kernel
	.section	.text._ZN9rocsparseL17kernel_correctionILi1024ELi32EfiiEEvT3_T2_PKS2_S4_PKS1_PKT1_21rocsparse_index_base_S4_S4_S6_S9_PS7_SA_S4_S4_S6_S9_SB_SA_S9_SB_,"axG",@progbits,_ZN9rocsparseL17kernel_correctionILi1024ELi32EfiiEEvT3_T2_PKS2_S4_PKS1_PKT1_21rocsparse_index_base_S4_S4_S6_S9_PS7_SA_S4_S4_S6_S9_SB_SA_S9_SB_,comdat
.Lfunc_end5:
	.size	_ZN9rocsparseL17kernel_correctionILi1024ELi32EfiiEEvT3_T2_PKS2_S4_PKS1_PKT1_21rocsparse_index_base_S4_S4_S6_S9_PS7_SA_S4_S4_S6_S9_SB_SA_S9_SB_, .Lfunc_end5-_ZN9rocsparseL17kernel_correctionILi1024ELi32EfiiEEvT3_T2_PKS2_S4_PKS1_PKT1_21rocsparse_index_base_S4_S4_S6_S9_PS7_SA_S4_S4_S6_S9_SB_SA_S9_SB_
                                        ; -- End function
	.set _ZN9rocsparseL17kernel_correctionILi1024ELi32EfiiEEvT3_T2_PKS2_S4_PKS1_PKT1_21rocsparse_index_base_S4_S4_S6_S9_PS7_SA_S4_S4_S6_S9_SB_SA_S9_SB_.num_vgpr, 34
	.set _ZN9rocsparseL17kernel_correctionILi1024ELi32EfiiEEvT3_T2_PKS2_S4_PKS1_PKT1_21rocsparse_index_base_S4_S4_S6_S9_PS7_SA_S4_S4_S6_S9_SB_SA_S9_SB_.num_agpr, 0
	.set _ZN9rocsparseL17kernel_correctionILi1024ELi32EfiiEEvT3_T2_PKS2_S4_PKS1_PKT1_21rocsparse_index_base_S4_S4_S6_S9_PS7_SA_S4_S4_S6_S9_SB_SA_S9_SB_.numbered_sgpr, 52
	.set _ZN9rocsparseL17kernel_correctionILi1024ELi32EfiiEEvT3_T2_PKS2_S4_PKS1_PKT1_21rocsparse_index_base_S4_S4_S6_S9_PS7_SA_S4_S4_S6_S9_SB_SA_S9_SB_.num_named_barrier, 0
	.set _ZN9rocsparseL17kernel_correctionILi1024ELi32EfiiEEvT3_T2_PKS2_S4_PKS1_PKT1_21rocsparse_index_base_S4_S4_S6_S9_PS7_SA_S4_S4_S6_S9_SB_SA_S9_SB_.private_seg_size, 0
	.set _ZN9rocsparseL17kernel_correctionILi1024ELi32EfiiEEvT3_T2_PKS2_S4_PKS1_PKT1_21rocsparse_index_base_S4_S4_S6_S9_PS7_SA_S4_S4_S6_S9_SB_SA_S9_SB_.uses_vcc, 1
	.set _ZN9rocsparseL17kernel_correctionILi1024ELi32EfiiEEvT3_T2_PKS2_S4_PKS1_PKT1_21rocsparse_index_base_S4_S4_S6_S9_PS7_SA_S4_S4_S6_S9_SB_SA_S9_SB_.uses_flat_scratch, 0
	.set _ZN9rocsparseL17kernel_correctionILi1024ELi32EfiiEEvT3_T2_PKS2_S4_PKS1_PKT1_21rocsparse_index_base_S4_S4_S6_S9_PS7_SA_S4_S4_S6_S9_SB_SA_S9_SB_.has_dyn_sized_stack, 0
	.set _ZN9rocsparseL17kernel_correctionILi1024ELi32EfiiEEvT3_T2_PKS2_S4_PKS1_PKT1_21rocsparse_index_base_S4_S4_S6_S9_PS7_SA_S4_S4_S6_S9_SB_SA_S9_SB_.has_recursion, 0
	.set _ZN9rocsparseL17kernel_correctionILi1024ELi32EfiiEEvT3_T2_PKS2_S4_PKS1_PKT1_21rocsparse_index_base_S4_S4_S6_S9_PS7_SA_S4_S4_S6_S9_SB_SA_S9_SB_.has_indirect_call, 0
	.section	.AMDGPU.csdata,"",@progbits
; Kernel info:
; codeLenInByte = 1656
; TotalNumSgprs: 54
; NumVgprs: 34
; ScratchSize: 0
; MemoryBound: 0
; FloatMode: 240
; IeeeMode: 1
; LDSByteSize: 0 bytes/workgroup (compile time only)
; SGPRBlocks: 0
; VGPRBlocks: 4
; NumSGPRsForWavesPerEU: 54
; NumVGPRsForWavesPerEU: 34
; Occupancy: 16
; WaveLimiterHint : 1
; COMPUTE_PGM_RSRC2:SCRATCH_EN: 0
; COMPUTE_PGM_RSRC2:USER_SGPR: 6
; COMPUTE_PGM_RSRC2:TRAP_HANDLER: 0
; COMPUTE_PGM_RSRC2:TGID_X_EN: 1
; COMPUTE_PGM_RSRC2:TGID_Y_EN: 0
; COMPUTE_PGM_RSRC2:TGID_Z_EN: 0
; COMPUTE_PGM_RSRC2:TIDIG_COMP_CNT: 0
	.section	.text._ZN9rocsparseL17kernel_correctionILi1024ELi64EfiiEEvT3_T2_PKS2_S4_PKS1_PKT1_21rocsparse_index_base_S4_S4_S6_S9_PS7_SA_S4_S4_S6_S9_SB_SA_S9_SB_,"axG",@progbits,_ZN9rocsparseL17kernel_correctionILi1024ELi64EfiiEEvT3_T2_PKS2_S4_PKS1_PKT1_21rocsparse_index_base_S4_S4_S6_S9_PS7_SA_S4_S4_S6_S9_SB_SA_S9_SB_,comdat
	.globl	_ZN9rocsparseL17kernel_correctionILi1024ELi64EfiiEEvT3_T2_PKS2_S4_PKS1_PKT1_21rocsparse_index_base_S4_S4_S6_S9_PS7_SA_S4_S4_S6_S9_SB_SA_S9_SB_ ; -- Begin function _ZN9rocsparseL17kernel_correctionILi1024ELi64EfiiEEvT3_T2_PKS2_S4_PKS1_PKT1_21rocsparse_index_base_S4_S4_S6_S9_PS7_SA_S4_S4_S6_S9_SB_SA_S9_SB_
	.p2align	8
	.type	_ZN9rocsparseL17kernel_correctionILi1024ELi64EfiiEEvT3_T2_PKS2_S4_PKS1_PKT1_21rocsparse_index_base_S4_S4_S6_S9_PS7_SA_S4_S4_S6_S9_SB_SA_S9_SB_,@function
_ZN9rocsparseL17kernel_correctionILi1024ELi64EfiiEEvT3_T2_PKS2_S4_PKS1_PKT1_21rocsparse_index_base_S4_S4_S6_S9_PS7_SA_S4_S4_S6_S9_SB_SA_S9_SB_: ; @_ZN9rocsparseL17kernel_correctionILi1024ELi64EfiiEEvT3_T2_PKS2_S4_PKS1_PKT1_21rocsparse_index_base_S4_S4_S6_S9_PS7_SA_S4_S4_S6_S9_SB_SA_S9_SB_
; %bb.0:
	s_load_dword s33, s[4:5], 0x0
	v_lshrrev_b32_e32 v1, 6, v0
	s_lshl_b32 s34, s6, 10
	s_mov_b32 s0, exec_lo
	v_or_b32_e32 v1, s34, v1
	s_waitcnt lgkmcnt(0)
	v_cmpx_gt_i32_e64 s33, v1
	s_cbranch_execz .LBB6_40
; %bb.1:
	s_addk_i32 s34, 0x400
	v_cmp_gt_u32_e32 vcc_lo, s34, v1
	s_and_b32 exec_lo, exec_lo, vcc_lo
	s_cbranch_execz .LBB6_40
; %bb.2:
	s_clause 0x8
	s_load_dwordx4 s[36:39], s[4:5], 0x90
	s_load_dwordx8 s[8:15], s[4:5], 0x60
	s_load_dword s35, s[4:5], 0x28
	s_load_dwordx8 s[16:23], s[4:5], 0x30
	s_load_dwordx8 s[24:31], s[4:5], 0x8
	s_load_dwordx2 s[2:3], s[4:5], 0x50
	s_load_dword s40, s[4:5], 0x58
	s_load_dwordx2 s[6:7], s[4:5], 0x80
	s_load_dword s4, s[4:5], 0x88
	v_and_b32_e32 v0, 63, v0
	v_mov_b32_e32 v3, 0
	s_mov_b32 s5, 0
	s_waitcnt lgkmcnt(0)
	v_subrev_nc_u32_e32 v0, s35, v0
	s_branch .LBB6_4
.LBB6_3:                                ;   in Loop: Header=BB6_4 Depth=1
	s_or_b32 exec_lo, exec_lo, s41
	v_add_nc_u32_e32 v1, 16, v1
	v_cmp_le_u32_e32 vcc_lo, s34, v1
	s_or_b32 s5, vcc_lo, s5
	s_andn2_b32 exec_lo, exec_lo, s5
	s_cbranch_execz .LBB6_40
.LBB6_4:                                ; =>This Loop Header: Depth=1
                                        ;     Child Loop BB6_8 Depth 2
                                        ;       Child Loop BB6_12 Depth 3
                                        ;       Child Loop BB6_26 Depth 3
	;; [unrolled: 1-line block ×3, first 2 shown]
	s_mov_b32 s41, exec_lo
	v_cmpx_gt_i32_e64 s33, v1
	s_cbranch_execz .LBB6_3
; %bb.5:                                ;   in Loop: Header=BB6_4 Depth=1
	v_ashrrev_i32_e32 v2, 31, v1
	v_lshlrev_b64 v[5:6], 2, v[1:2]
	v_add_co_u32 v7, vcc_lo, s24, v5
	v_add_co_ci_u32_e64 v8, null, s25, v6, vcc_lo
	v_add_co_u32 v9, vcc_lo, s26, v5
	v_add_co_ci_u32_e64 v10, null, s27, v6, vcc_lo
	global_load_dword v2, v[7:8], off
	global_load_dword v7, v[9:10], off
	s_waitcnt vmcnt(1)
	v_add_nc_u32_e32 v4, v0, v2
	s_waitcnt vmcnt(0)
	v_subrev_nc_u32_e32 v19, s35, v7
	v_cmp_lt_i32_e32 vcc_lo, v4, v19
	s_and_b32 exec_lo, exec_lo, vcc_lo
	s_cbranch_execz .LBB6_3
; %bb.6:                                ;   in Loop: Header=BB6_4 Depth=1
	v_add_co_u32 v7, vcc_lo, s16, v5
	v_add_co_ci_u32_e64 v8, null, s17, v6, vcc_lo
	v_add_co_u32 v5, vcc_lo, s18, v5
	v_add_co_ci_u32_e64 v6, null, s19, v6, vcc_lo
	global_load_dword v2, v[7:8], off
	s_mov_b32 s42, 0
	global_load_dword v5, v[5:6], off
	s_waitcnt vmcnt(1)
	v_subrev_nc_u32_e32 v6, s40, v2
	s_waitcnt vmcnt(0)
	v_sub_nc_u32_e32 v20, v5, v2
	v_ashrrev_i32_e32 v7, 31, v6
	v_cmp_lt_i32_e64 s0, 0, v20
	v_lshlrev_b64 v[7:8], 2, v[6:7]
	v_add_co_u32 v21, vcc_lo, s20, v7
	v_add_co_ci_u32_e64 v22, null, s21, v8, vcc_lo
	v_add_co_u32 v23, vcc_lo, s22, v7
	v_add_co_ci_u32_e64 v24, null, s23, v8, vcc_lo
	s_branch .LBB6_8
.LBB6_7:                                ;   in Loop: Header=BB6_8 Depth=2
	s_or_b32 exec_lo, exec_lo, s43
	v_add_nc_u32_e32 v4, 64, v4
	v_cmp_ge_i32_e32 vcc_lo, v4, v19
	s_or_b32 s42, vcc_lo, s42
	s_andn2_b32 exec_lo, exec_lo, s42
	s_cbranch_execz .LBB6_3
.LBB6_8:                                ;   Parent Loop BB6_4 Depth=1
                                        ; =>  This Loop Header: Depth=2
                                        ;       Child Loop BB6_12 Depth 3
                                        ;       Child Loop BB6_26 Depth 3
	;; [unrolled: 1-line block ×3, first 2 shown]
	v_ashrrev_i32_e32 v5, 31, v4
	v_mov_b32_e32 v25, 0
	v_lshlrev_b64 v[13:14], 2, v[4:5]
	v_add_co_u32 v7, vcc_lo, s28, v13
	v_add_co_ci_u32_e64 v8, null, s29, v14, vcc_lo
	global_load_dword v2, v[7:8], off
	s_waitcnt vmcnt(0)
	v_subrev_nc_u32_e32 v7, s35, v2
	v_ashrrev_i32_e32 v8, 31, v7
	v_lshlrev_b64 v[11:12], 2, v[7:8]
	v_add_co_u32 v8, vcc_lo, s8, v11
	v_add_co_ci_u32_e64 v9, null, s9, v12, vcc_lo
	v_add_co_u32 v15, vcc_lo, s10, v11
	v_add_co_ci_u32_e64 v16, null, s11, v12, vcc_lo
	global_load_dword v2, v[8:9], off
	global_load_dword v5, v[15:16], off
	v_mov_b32_e32 v9, 0
	s_waitcnt vmcnt(1)
	v_subrev_nc_u32_e32 v8, s4, v2
	s_waitcnt vmcnt(0)
	v_sub_nc_u32_e32 v5, v5, v2
	v_mov_b32_e32 v2, v9
	s_and_saveexec_b32 s43, s0
	s_cbranch_execz .LBB6_16
; %bb.9:                                ;   in Loop: Header=BB6_8 Depth=2
	v_ashrrev_i32_e32 v9, 31, v8
	v_mov_b32_e32 v25, 0
	v_mov_b32_e32 v2, 0
	s_mov_b32 s44, 0
                                        ; implicit-def: $sgpr45
	v_lshlrev_b64 v[9:10], 2, v[8:9]
	v_add_co_u32 v26, vcc_lo, s12, v9
	v_add_co_ci_u32_e64 v27, null, s13, v10, vcc_lo
	v_add_co_u32 v28, vcc_lo, s14, v9
	v_add_co_ci_u32_e64 v29, null, s15, v10, vcc_lo
	v_mov_b32_e32 v9, 0
	s_branch .LBB6_12
.LBB6_10:                               ;   in Loop: Header=BB6_12 Depth=3
	s_or_b32 exec_lo, exec_lo, s1
	v_cmp_le_i32_e32 vcc_lo, v10, v30
	v_cmp_ge_i32_e64 s1, v10, v30
	v_add_co_ci_u32_e64 v2, null, 0, v2, vcc_lo
	v_add_co_ci_u32_e64 v9, null, 0, v9, s1
	s_andn2_b32 s1, s45, exec_lo
	v_cmp_ge_i32_e32 vcc_lo, v2, v20
	s_and_b32 s45, vcc_lo, exec_lo
	s_or_b32 s45, s1, s45
.LBB6_11:                               ;   in Loop: Header=BB6_12 Depth=3
	s_or_b32 exec_lo, exec_lo, s46
	s_and_b32 s1, exec_lo, s45
	s_or_b32 s44, s1, s44
	s_andn2_b32 exec_lo, exec_lo, s44
	s_cbranch_execz .LBB6_15
.LBB6_12:                               ;   Parent Loop BB6_4 Depth=1
                                        ;     Parent Loop BB6_8 Depth=2
                                        ; =>    This Inner Loop Header: Depth=3
	s_or_b32 s45, s45, exec_lo
	s_mov_b32 s46, exec_lo
	v_cmpx_lt_i32_e64 v9, v5
	s_cbranch_execz .LBB6_11
; %bb.13:                               ;   in Loop: Header=BB6_12 Depth=3
	v_mov_b32_e32 v10, v3
	v_lshlrev_b64 v[17:18], 2, v[2:3]
	s_mov_b32 s1, exec_lo
	v_lshlrev_b64 v[15:16], 2, v[9:10]
	v_add_co_u32 v30, vcc_lo, v21, v17
	v_add_co_ci_u32_e64 v31, null, v22, v18, vcc_lo
	v_add_co_u32 v32, vcc_lo, v26, v15
	v_add_co_ci_u32_e64 v33, null, v27, v16, vcc_lo
	global_load_dword v10, v[30:31], off
	global_load_dword v30, v[32:33], off
	s_waitcnt vmcnt(1)
	v_subrev_nc_u32_e32 v10, s40, v10
	s_waitcnt vmcnt(0)
	v_subrev_nc_u32_e32 v30, s4, v30
	v_cmpx_eq_u32_e64 v10, v30
	s_cbranch_execz .LBB6_10
; %bb.14:                               ;   in Loop: Header=BB6_12 Depth=3
	v_add_co_u32 v17, vcc_lo, v23, v17
	v_add_co_ci_u32_e64 v18, null, v24, v18, vcc_lo
	v_add_co_u32 v15, vcc_lo, v28, v15
	v_add_co_ci_u32_e64 v16, null, v29, v16, vcc_lo
	global_load_dword v17, v[17:18], off
	global_load_dword v15, v[15:16], off
	s_waitcnt vmcnt(0)
	v_fmac_f32_e32 v25, v17, v15
	s_branch .LBB6_10
.LBB6_15:                               ;   in Loop: Header=BB6_8 Depth=2
	s_or_b32 exec_lo, exec_lo, s44
.LBB6_16:                               ;   in Loop: Header=BB6_8 Depth=2
	s_or_b32 exec_lo, exec_lo, s43
	v_add_co_u32 v13, vcc_lo, s30, v13
	v_add_co_ci_u32_e64 v14, null, s31, v14, vcc_lo
	v_cmp_le_i32_e64 s1, v1, v7
	s_mov_b32 s43, exec_lo
	global_load_dword v10, v[13:14], off
	s_waitcnt vmcnt(0)
	v_sub_f32_e32 v13, v10, v25
	v_cmpx_gt_i32_e64 v1, v7
	s_cbranch_execz .LBB6_18
; %bb.17:                               ;   in Loop: Header=BB6_8 Depth=2
	v_add_co_u32 v14, vcc_lo, s36, v11
	v_add_co_ci_u32_e64 v15, null, s37, v12, vcc_lo
	global_load_dword v10, v[14:15], off
	s_waitcnt vmcnt(0)
	v_div_scale_f32 v14, null, v10, v10, v13
	v_rcp_f32_e32 v15, v14
	v_fma_f32 v16, -v14, v15, 1.0
	v_fmac_f32_e32 v15, v16, v15
	v_div_scale_f32 v16, vcc_lo, v13, v10, v13
	v_mul_f32_e32 v17, v16, v15
	v_fma_f32 v18, -v14, v17, v16
	v_fmac_f32_e32 v17, v18, v15
	v_fma_f32 v14, -v14, v17, v16
	v_div_fmas_f32 v14, v14, v15, v17
	v_div_fixup_f32 v13, v14, v10, v13
.LBB6_18:                               ;   in Loop: Header=BB6_8 Depth=2
	s_or_b32 exec_lo, exec_lo, s43
	v_cmp_class_f32_e64 s44, v13, 0x1f8
	s_and_saveexec_b32 s43, s44
	s_cbranch_execz .LBB6_7
; %bb.19:                               ;   in Loop: Header=BB6_8 Depth=2
	s_and_saveexec_b32 s44, s1
	s_xor_b32 s1, exec_lo, s44
	s_cbranch_execz .LBB6_32
; %bb.20:                               ;   in Loop: Header=BB6_8 Depth=2
	s_mov_b32 s44, exec_lo
	v_cmpx_ge_i32_e64 v1, v7
	s_xor_b32 s44, exec_lo, s44
	s_cbranch_execz .LBB6_22
; %bb.21:                               ;   in Loop: Header=BB6_8 Depth=2
	v_add_co_u32 v7, vcc_lo, s38, v11
	v_add_co_ci_u32_e64 v8, null, s39, v12, vcc_lo
                                        ; implicit-def: $vgpr9
                                        ; implicit-def: $vgpr5
	global_store_dword v[7:8], v13, off
                                        ; implicit-def: $vgpr13
                                        ; implicit-def: $vgpr8
.LBB6_22:                               ;   in Loop: Header=BB6_8 Depth=2
	s_andn2_saveexec_b32 s44, s44
	s_cbranch_execz .LBB6_31
; %bb.23:                               ;   in Loop: Header=BB6_8 Depth=2
	s_mov_b32 s45, exec_lo
	v_cmpx_lt_i32_e64 v9, v5
	s_cbranch_execz .LBB6_30
; %bb.24:                               ;   in Loop: Header=BB6_8 Depth=2
	s_mov_b32 s46, 0
                                        ; implicit-def: $sgpr47
                                        ; implicit-def: $sgpr49
                                        ; implicit-def: $sgpr48
	s_inst_prefetch 0x1
	s_branch .LBB6_26
	.p2align	6
.LBB6_25:                               ;   in Loop: Header=BB6_26 Depth=3
	s_or_b32 exec_lo, exec_lo, s50
	s_and_b32 s50, exec_lo, s49
	s_or_b32 s46, s50, s46
	s_andn2_b32 s47, s47, exec_lo
	s_and_b32 s50, s48, exec_lo
	s_or_b32 s47, s47, s50
	s_andn2_b32 exec_lo, exec_lo, s46
	s_cbranch_execz .LBB6_28
.LBB6_26:                               ;   Parent Loop BB6_4 Depth=1
                                        ;     Parent Loop BB6_8 Depth=2
                                        ; =>    This Inner Loop Header: Depth=3
	v_add_nc_u32_e32 v10, v8, v9
	s_or_b32 s48, s48, exec_lo
	s_or_b32 s49, s49, exec_lo
	s_mov_b32 s50, exec_lo
	v_ashrrev_i32_e32 v11, 31, v10
	v_lshlrev_b64 v[10:11], 2, v[10:11]
	v_add_co_u32 v14, vcc_lo, s12, v10
	v_add_co_ci_u32_e64 v15, null, s13, v11, vcc_lo
	global_load_dword v2, v[14:15], off
	s_waitcnt vmcnt(0)
	v_subrev_nc_u32_e32 v2, s4, v2
	v_cmpx_ne_u32_e64 v2, v1
	s_cbranch_execz .LBB6_25
; %bb.27:                               ;   in Loop: Header=BB6_26 Depth=3
	v_add_nc_u32_e32 v9, 1, v9
	s_andn2_b32 s49, s49, exec_lo
	s_andn2_b32 s48, s48, exec_lo
	v_cmp_ge_i32_e32 vcc_lo, v9, v5
	s_and_b32 s51, vcc_lo, exec_lo
	s_or_b32 s49, s49, s51
	s_branch .LBB6_25
.LBB6_28:                               ;   in Loop: Header=BB6_8 Depth=2
	s_inst_prefetch 0x2
	s_or_b32 exec_lo, exec_lo, s46
	s_and_saveexec_b32 s46, s47
	s_xor_b32 s46, exec_lo, s46
	s_cbranch_execz .LBB6_30
; %bb.29:                               ;   in Loop: Header=BB6_8 Depth=2
	v_add_co_u32 v7, vcc_lo, s6, v10
	v_add_co_ci_u32_e64 v8, null, s7, v11, vcc_lo
	global_store_dword v[7:8], v13, off
.LBB6_30:                               ;   in Loop: Header=BB6_8 Depth=2
	s_or_b32 exec_lo, exec_lo, s45
.LBB6_31:                               ;   in Loop: Header=BB6_8 Depth=2
	s_or_b32 exec_lo, exec_lo, s44
                                        ; implicit-def: $vgpr13
                                        ; implicit-def: $vgpr7_vgpr8
.LBB6_32:                               ;   in Loop: Header=BB6_8 Depth=2
	s_andn2_saveexec_b32 s1, s1
	s_cbranch_execz .LBB6_7
; %bb.33:                               ;   in Loop: Header=BB6_8 Depth=2
	v_cmp_lt_i32_e32 vcc_lo, v2, v20
	s_and_b32 exec_lo, exec_lo, vcc_lo
	s_cbranch_execz .LBB6_7
; %bb.34:                               ;   in Loop: Header=BB6_8 Depth=2
	s_mov_b32 s1, 0
                                        ; implicit-def: $sgpr44
                                        ; implicit-def: $sgpr46
                                        ; implicit-def: $sgpr45
	s_inst_prefetch 0x1
	s_branch .LBB6_36
	.p2align	6
.LBB6_35:                               ;   in Loop: Header=BB6_36 Depth=3
	s_or_b32 exec_lo, exec_lo, s47
	s_and_b32 s47, exec_lo, s46
	s_or_b32 s1, s47, s1
	s_andn2_b32 s44, s44, exec_lo
	s_and_b32 s47, s45, exec_lo
	s_or_b32 s44, s44, s47
	s_andn2_b32 exec_lo, exec_lo, s1
	s_cbranch_execz .LBB6_38
.LBB6_36:                               ;   Parent Loop BB6_4 Depth=1
                                        ;     Parent Loop BB6_8 Depth=2
                                        ; =>    This Inner Loop Header: Depth=3
	v_add_nc_u32_e32 v8, v6, v2
	s_or_b32 s45, s45, exec_lo
	s_or_b32 s46, s46, exec_lo
	s_mov_b32 s47, exec_lo
	v_ashrrev_i32_e32 v9, 31, v8
	v_lshlrev_b64 v[8:9], 2, v[8:9]
	v_add_co_u32 v10, vcc_lo, s20, v8
	v_add_co_ci_u32_e64 v11, null, s21, v9, vcc_lo
	global_load_dword v5, v[10:11], off
	s_waitcnt vmcnt(0)
	v_subrev_nc_u32_e32 v5, s40, v5
	v_cmpx_ne_u32_e64 v5, v7
	s_cbranch_execz .LBB6_35
; %bb.37:                               ;   in Loop: Header=BB6_36 Depth=3
	v_add_nc_u32_e32 v2, 1, v2
	s_andn2_b32 s46, s46, exec_lo
	s_andn2_b32 s45, s45, exec_lo
	v_cmp_ge_i32_e32 vcc_lo, v2, v20
	s_and_b32 s48, vcc_lo, exec_lo
	s_or_b32 s46, s46, s48
	s_branch .LBB6_35
.LBB6_38:                               ;   in Loop: Header=BB6_8 Depth=2
	s_inst_prefetch 0x2
	s_or_b32 exec_lo, exec_lo, s1
	s_and_saveexec_b32 s1, s44
	s_xor_b32 s1, exec_lo, s1
	s_cbranch_execz .LBB6_7
; %bb.39:                               ;   in Loop: Header=BB6_8 Depth=2
	v_add_co_u32 v7, vcc_lo, s2, v8
	v_add_co_ci_u32_e64 v8, null, s3, v9, vcc_lo
	global_store_dword v[7:8], v13, off
	s_branch .LBB6_7
.LBB6_40:
	s_endpgm
	.section	.rodata,"a",@progbits
	.p2align	6, 0x0
	.amdhsa_kernel _ZN9rocsparseL17kernel_correctionILi1024ELi64EfiiEEvT3_T2_PKS2_S4_PKS1_PKT1_21rocsparse_index_base_S4_S4_S6_S9_PS7_SA_S4_S4_S6_S9_SB_SA_S9_SB_
		.amdhsa_group_segment_fixed_size 0
		.amdhsa_private_segment_fixed_size 0
		.amdhsa_kernarg_size 160
		.amdhsa_user_sgpr_count 6
		.amdhsa_user_sgpr_private_segment_buffer 1
		.amdhsa_user_sgpr_dispatch_ptr 0
		.amdhsa_user_sgpr_queue_ptr 0
		.amdhsa_user_sgpr_kernarg_segment_ptr 1
		.amdhsa_user_sgpr_dispatch_id 0
		.amdhsa_user_sgpr_flat_scratch_init 0
		.amdhsa_user_sgpr_private_segment_size 0
		.amdhsa_wavefront_size32 1
		.amdhsa_uses_dynamic_stack 0
		.amdhsa_system_sgpr_private_segment_wavefront_offset 0
		.amdhsa_system_sgpr_workgroup_id_x 1
		.amdhsa_system_sgpr_workgroup_id_y 0
		.amdhsa_system_sgpr_workgroup_id_z 0
		.amdhsa_system_sgpr_workgroup_info 0
		.amdhsa_system_vgpr_workitem_id 0
		.amdhsa_next_free_vgpr 34
		.amdhsa_next_free_sgpr 52
		.amdhsa_reserve_vcc 1
		.amdhsa_reserve_flat_scratch 0
		.amdhsa_float_round_mode_32 0
		.amdhsa_float_round_mode_16_64 0
		.amdhsa_float_denorm_mode_32 3
		.amdhsa_float_denorm_mode_16_64 3
		.amdhsa_dx10_clamp 1
		.amdhsa_ieee_mode 1
		.amdhsa_fp16_overflow 0
		.amdhsa_workgroup_processor_mode 1
		.amdhsa_memory_ordered 1
		.amdhsa_forward_progress 1
		.amdhsa_shared_vgpr_count 0
		.amdhsa_exception_fp_ieee_invalid_op 0
		.amdhsa_exception_fp_denorm_src 0
		.amdhsa_exception_fp_ieee_div_zero 0
		.amdhsa_exception_fp_ieee_overflow 0
		.amdhsa_exception_fp_ieee_underflow 0
		.amdhsa_exception_fp_ieee_inexact 0
		.amdhsa_exception_int_div_zero 0
	.end_amdhsa_kernel
	.section	.text._ZN9rocsparseL17kernel_correctionILi1024ELi64EfiiEEvT3_T2_PKS2_S4_PKS1_PKT1_21rocsparse_index_base_S4_S4_S6_S9_PS7_SA_S4_S4_S6_S9_SB_SA_S9_SB_,"axG",@progbits,_ZN9rocsparseL17kernel_correctionILi1024ELi64EfiiEEvT3_T2_PKS2_S4_PKS1_PKT1_21rocsparse_index_base_S4_S4_S6_S9_PS7_SA_S4_S4_S6_S9_SB_SA_S9_SB_,comdat
.Lfunc_end6:
	.size	_ZN9rocsparseL17kernel_correctionILi1024ELi64EfiiEEvT3_T2_PKS2_S4_PKS1_PKT1_21rocsparse_index_base_S4_S4_S6_S9_PS7_SA_S4_S4_S6_S9_SB_SA_S9_SB_, .Lfunc_end6-_ZN9rocsparseL17kernel_correctionILi1024ELi64EfiiEEvT3_T2_PKS2_S4_PKS1_PKT1_21rocsparse_index_base_S4_S4_S6_S9_PS7_SA_S4_S4_S6_S9_SB_SA_S9_SB_
                                        ; -- End function
	.set _ZN9rocsparseL17kernel_correctionILi1024ELi64EfiiEEvT3_T2_PKS2_S4_PKS1_PKT1_21rocsparse_index_base_S4_S4_S6_S9_PS7_SA_S4_S4_S6_S9_SB_SA_S9_SB_.num_vgpr, 34
	.set _ZN9rocsparseL17kernel_correctionILi1024ELi64EfiiEEvT3_T2_PKS2_S4_PKS1_PKT1_21rocsparse_index_base_S4_S4_S6_S9_PS7_SA_S4_S4_S6_S9_SB_SA_S9_SB_.num_agpr, 0
	.set _ZN9rocsparseL17kernel_correctionILi1024ELi64EfiiEEvT3_T2_PKS2_S4_PKS1_PKT1_21rocsparse_index_base_S4_S4_S6_S9_PS7_SA_S4_S4_S6_S9_SB_SA_S9_SB_.numbered_sgpr, 52
	.set _ZN9rocsparseL17kernel_correctionILi1024ELi64EfiiEEvT3_T2_PKS2_S4_PKS1_PKT1_21rocsparse_index_base_S4_S4_S6_S9_PS7_SA_S4_S4_S6_S9_SB_SA_S9_SB_.num_named_barrier, 0
	.set _ZN9rocsparseL17kernel_correctionILi1024ELi64EfiiEEvT3_T2_PKS2_S4_PKS1_PKT1_21rocsparse_index_base_S4_S4_S6_S9_PS7_SA_S4_S4_S6_S9_SB_SA_S9_SB_.private_seg_size, 0
	.set _ZN9rocsparseL17kernel_correctionILi1024ELi64EfiiEEvT3_T2_PKS2_S4_PKS1_PKT1_21rocsparse_index_base_S4_S4_S6_S9_PS7_SA_S4_S4_S6_S9_SB_SA_S9_SB_.uses_vcc, 1
	.set _ZN9rocsparseL17kernel_correctionILi1024ELi64EfiiEEvT3_T2_PKS2_S4_PKS1_PKT1_21rocsparse_index_base_S4_S4_S6_S9_PS7_SA_S4_S4_S6_S9_SB_SA_S9_SB_.uses_flat_scratch, 0
	.set _ZN9rocsparseL17kernel_correctionILi1024ELi64EfiiEEvT3_T2_PKS2_S4_PKS1_PKT1_21rocsparse_index_base_S4_S4_S6_S9_PS7_SA_S4_S4_S6_S9_SB_SA_S9_SB_.has_dyn_sized_stack, 0
	.set _ZN9rocsparseL17kernel_correctionILi1024ELi64EfiiEEvT3_T2_PKS2_S4_PKS1_PKT1_21rocsparse_index_base_S4_S4_S6_S9_PS7_SA_S4_S4_S6_S9_SB_SA_S9_SB_.has_recursion, 0
	.set _ZN9rocsparseL17kernel_correctionILi1024ELi64EfiiEEvT3_T2_PKS2_S4_PKS1_PKT1_21rocsparse_index_base_S4_S4_S6_S9_PS7_SA_S4_S4_S6_S9_SB_SA_S9_SB_.has_indirect_call, 0
	.section	.AMDGPU.csdata,"",@progbits
; Kernel info:
; codeLenInByte = 1656
; TotalNumSgprs: 54
; NumVgprs: 34
; ScratchSize: 0
; MemoryBound: 0
; FloatMode: 240
; IeeeMode: 1
; LDSByteSize: 0 bytes/workgroup (compile time only)
; SGPRBlocks: 0
; VGPRBlocks: 4
; NumSGPRsForWavesPerEU: 54
; NumVGPRsForWavesPerEU: 34
; Occupancy: 16
; WaveLimiterHint : 1
; COMPUTE_PGM_RSRC2:SCRATCH_EN: 0
; COMPUTE_PGM_RSRC2:USER_SGPR: 6
; COMPUTE_PGM_RSRC2:TRAP_HANDLER: 0
; COMPUTE_PGM_RSRC2:TGID_X_EN: 1
; COMPUTE_PGM_RSRC2:TGID_Y_EN: 0
; COMPUTE_PGM_RSRC2:TGID_Z_EN: 0
; COMPUTE_PGM_RSRC2:TIDIG_COMP_CNT: 0
	.section	.text._ZN9rocsparseL19kernel_nrm_residualILi1024ELi1EfiiEEvT3_T2_PKS2_S4_PKS1_PKT1_21rocsparse_index_base_S4_S4_S6_S9_SA_S4_S4_S6_S9_SA_S9_PNS_15floating_traitsIS7_E6data_tEPKSD_,"axG",@progbits,_ZN9rocsparseL19kernel_nrm_residualILi1024ELi1EfiiEEvT3_T2_PKS2_S4_PKS1_PKT1_21rocsparse_index_base_S4_S4_S6_S9_SA_S4_S4_S6_S9_SA_S9_PNS_15floating_traitsIS7_E6data_tEPKSD_,comdat
	.globl	_ZN9rocsparseL19kernel_nrm_residualILi1024ELi1EfiiEEvT3_T2_PKS2_S4_PKS1_PKT1_21rocsparse_index_base_S4_S4_S6_S9_SA_S4_S4_S6_S9_SA_S9_PNS_15floating_traitsIS7_E6data_tEPKSD_ ; -- Begin function _ZN9rocsparseL19kernel_nrm_residualILi1024ELi1EfiiEEvT3_T2_PKS2_S4_PKS1_PKT1_21rocsparse_index_base_S4_S4_S6_S9_SA_S4_S4_S6_S9_SA_S9_PNS_15floating_traitsIS7_E6data_tEPKSD_
	.p2align	8
	.type	_ZN9rocsparseL19kernel_nrm_residualILi1024ELi1EfiiEEvT3_T2_PKS2_S4_PKS1_PKT1_21rocsparse_index_base_S4_S4_S6_S9_SA_S4_S4_S6_S9_SA_S9_PNS_15floating_traitsIS7_E6data_tEPKSD_,@function
_ZN9rocsparseL19kernel_nrm_residualILi1024ELi1EfiiEEvT3_T2_PKS2_S4_PKS1_PKT1_21rocsparse_index_base_S4_S4_S6_S9_SA_S4_S4_S6_S9_SA_S9_PNS_15floating_traitsIS7_E6data_tEPKSD_: ; @_ZN9rocsparseL19kernel_nrm_residualILi1024ELi1EfiiEEvT3_T2_PKS2_S4_PKS1_PKT1_21rocsparse_index_base_S4_S4_S6_S9_SA_S4_S4_S6_S9_SA_S9_PNS_15floating_traitsIS7_E6data_tEPKSD_
; %bb.0:
	s_load_dword s7, s[4:5], 0x0
	s_lshl_b32 s34, s6, 10
	v_mov_b32_e32 v17, 0
	v_or_b32_e32 v1, s34, v0
	s_mov_b32 s6, exec_lo
	s_waitcnt lgkmcnt(0)
	v_cmpx_gt_i32_e64 s7, v1
	s_cbranch_execz .LBB7_40
; %bb.1:
	v_mov_b32_e32 v17, 0
	s_addk_i32 s34, 0x400
	s_mov_b32 s33, exec_lo
	v_cmpx_gt_u32_e64 s34, v1
	s_cbranch_execz .LBB7_39
; %bb.2:
	s_clause 0x6
	s_load_dwordx8 s[8:15], s[4:5], 0x58
	s_load_dwordx8 s[16:23], s[4:5], 0x30
	;; [unrolled: 1-line block ×3, first 2 shown]
	s_load_dword s35, s[4:5], 0x28
	s_load_dword s36, s[4:5], 0x50
	s_load_dwordx2 s[2:3], s[4:5], 0x80
	s_load_dword s37, s[4:5], 0x78
	v_mov_b32_e32 v3, 0
	v_mov_b32_e32 v17, 0
	s_mov_b32 s38, 0
	s_branch .LBB7_6
.LBB7_3:                                ;   in Loop: Header=BB7_6 Depth=1
	s_or_b32 exec_lo, exec_lo, s41
.LBB7_4:                                ;   in Loop: Header=BB7_6 Depth=1
	s_or_b32 exec_lo, exec_lo, s40
.LBB7_5:                                ;   in Loop: Header=BB7_6 Depth=1
	s_or_b32 exec_lo, exec_lo, s39
	v_add_nc_u32_e32 v1, 0x400, v1
	v_cmp_le_u32_e32 vcc_lo, s34, v1
	s_or_b32 s38, vcc_lo, s38
	s_andn2_b32 exec_lo, exec_lo, s38
	s_cbranch_execz .LBB7_38
.LBB7_6:                                ; =>This Loop Header: Depth=1
                                        ;     Child Loop BB7_10 Depth 2
                                        ;       Child Loop BB7_14 Depth 3
                                        ;       Child Loop BB7_24 Depth 3
	;; [unrolled: 1-line block ×3, first 2 shown]
	s_mov_b32 s39, exec_lo
	v_cmpx_gt_i32_e64 s7, v1
	s_cbranch_execz .LBB7_5
; %bb.7:                                ;   in Loop: Header=BB7_6 Depth=1
	v_ashrrev_i32_e32 v2, 31, v1
	s_mov_b32 s40, exec_lo
	v_lshlrev_b64 v[4:5], 2, v[1:2]
	s_waitcnt lgkmcnt(0)
	v_add_co_u32 v6, vcc_lo, s24, v4
	v_add_co_ci_u32_e64 v7, null, s25, v5, vcc_lo
	v_add_co_u32 v8, vcc_lo, s26, v4
	v_add_co_ci_u32_e64 v9, null, s27, v5, vcc_lo
	global_load_dword v2, v[6:7], off
	global_load_dword v6, v[8:9], off
	s_waitcnt vmcnt(0)
	v_cmpx_lt_i32_e64 v2, v6
	s_cbranch_execz .LBB7_4
; %bb.8:                                ;   in Loop: Header=BB7_6 Depth=1
	v_add_co_u32 v7, vcc_lo, s16, v4
	v_add_co_ci_u32_e64 v8, null, s17, v5, vcc_lo
	v_add_co_u32 v4, vcc_lo, s18, v4
	v_add_co_ci_u32_e64 v5, null, s19, v5, vcc_lo
	global_load_dword v9, v[7:8], off
	v_subrev_nc_u32_e32 v18, s35, v6
	s_mov_b32 s41, 0
	global_load_dword v10, v[4:5], off
	s_waitcnt vmcnt(1)
	v_subrev_nc_u32_e32 v4, s36, v9
	s_waitcnt vmcnt(0)
	v_sub_nc_u32_e32 v19, v10, v9
	v_ashrrev_i32_e32 v5, 31, v4
	v_lshlrev_b64 v[7:8], 2, v[4:5]
	v_subrev_nc_u32_e32 v5, s35, v2
	v_add_co_u32 v20, vcc_lo, s20, v7
	v_add_co_ci_u32_e64 v21, null, s21, v8, vcc_lo
	v_add_co_u32 v22, vcc_lo, s22, v7
	v_add_co_ci_u32_e64 v23, null, s23, v8, vcc_lo
	v_cmp_lt_i32_e32 vcc_lo, 0, v19
	s_branch .LBB7_10
.LBB7_9:                                ;   in Loop: Header=BB7_10 Depth=2
	s_or_b32 exec_lo, exec_lo, s1
	v_add_co_u32 v6, s0, s30, v6
	v_add_co_ci_u32_e64 v7, null, s31, v7, s0
	v_add_nc_u32_e32 v5, 1, v5
	global_load_dword v2, v[6:7], off
	v_cmp_ge_i32_e64 s0, v5, v18
	s_waitcnt vmcnt(0)
	v_sub_f32_e32 v2, v2, v24
	v_cmp_nlg_f32_e64 s1, 0x7f800000, |v2|
	v_cmp_gt_f32_e64 s42, v17, |v2|
	s_or_b32 s1, s1, s42
	s_or_b32 s41, s0, s41
	v_cndmask_b32_e64 v17, |v2|, v17, s1
	s_andn2_b32 exec_lo, exec_lo, s41
	s_cbranch_execz .LBB7_3
.LBB7_10:                               ;   Parent Loop BB7_6 Depth=1
                                        ; =>  This Loop Header: Depth=2
                                        ;       Child Loop BB7_14 Depth 3
                                        ;       Child Loop BB7_24 Depth 3
	;; [unrolled: 1-line block ×3, first 2 shown]
	v_ashrrev_i32_e32 v6, 31, v5
	v_mov_b32_e32 v24, 0
	v_lshlrev_b64 v[6:7], 2, v[5:6]
	v_add_co_u32 v8, s0, s28, v6
	v_add_co_ci_u32_e64 v9, null, s29, v7, s0
	global_load_dword v2, v[8:9], off
	s_waitcnt vmcnt(0)
	v_subrev_nc_u32_e32 v10, s35, v2
	v_ashrrev_i32_e32 v11, 31, v10
	v_lshlrev_b64 v[8:9], 2, v[10:11]
	v_add_co_u32 v11, s0, s8, v8
	v_add_co_ci_u32_e64 v12, null, s9, v9, s0
	v_add_co_u32 v13, s0, s10, v8
	v_add_co_ci_u32_e64 v14, null, s11, v9, s0
	global_load_dword v2, v[11:12], off
	global_load_dword v13, v[13:14], off
	v_mov_b32_e32 v12, 0
	s_waitcnt vmcnt(1)
	v_subrev_nc_u32_e32 v11, s37, v2
	s_waitcnt vmcnt(0)
	v_sub_nc_u32_e32 v25, v13, v2
	v_mov_b32_e32 v2, v12
	s_and_saveexec_b32 s42, vcc_lo
	s_cbranch_execz .LBB7_18
; %bb.11:                               ;   in Loop: Header=BB7_10 Depth=2
	v_ashrrev_i32_e32 v12, 31, v11
	v_mov_b32_e32 v24, 0
	v_mov_b32_e32 v2, 0
	s_mov_b32 s43, 0
                                        ; implicit-def: $sgpr44
	v_lshlrev_b64 v[12:13], 2, v[11:12]
	v_add_co_u32 v26, s0, s12, v12
	v_add_co_ci_u32_e64 v27, null, s13, v13, s0
	v_add_co_u32 v28, s0, s14, v12
	v_add_co_ci_u32_e64 v29, null, s15, v13, s0
	v_mov_b32_e32 v12, 0
	s_branch .LBB7_14
.LBB7_12:                               ;   in Loop: Header=BB7_14 Depth=3
	s_or_b32 exec_lo, exec_lo, s1
	v_cmp_le_i32_e64 s0, v30, v31
	v_cmp_ge_i32_e64 s1, v30, v31
	v_add_co_ci_u32_e64 v2, null, 0, v2, s0
	v_add_co_ci_u32_e64 v12, null, 0, v12, s1
	s_andn2_b32 s1, s44, exec_lo
	v_cmp_ge_i32_e64 s0, v2, v19
	s_and_b32 s0, s0, exec_lo
	s_or_b32 s44, s1, s0
.LBB7_13:                               ;   in Loop: Header=BB7_14 Depth=3
	s_or_b32 exec_lo, exec_lo, s45
	s_and_b32 s0, exec_lo, s44
	s_or_b32 s43, s0, s43
	s_andn2_b32 exec_lo, exec_lo, s43
	s_cbranch_execz .LBB7_17
.LBB7_14:                               ;   Parent Loop BB7_6 Depth=1
                                        ;     Parent Loop BB7_10 Depth=2
                                        ; =>    This Inner Loop Header: Depth=3
	s_or_b32 s44, s44, exec_lo
	s_mov_b32 s45, exec_lo
	v_cmpx_lt_i32_e64 v12, v25
	s_cbranch_execz .LBB7_13
; %bb.15:                               ;   in Loop: Header=BB7_14 Depth=3
	v_mov_b32_e32 v13, v3
	v_lshlrev_b64 v[15:16], 2, v[2:3]
	s_mov_b32 s1, exec_lo
	v_lshlrev_b64 v[13:14], 2, v[12:13]
	v_add_co_u32 v30, s0, v20, v15
	v_add_co_ci_u32_e64 v31, null, v21, v16, s0
	v_add_co_u32 v32, s0, v26, v13
	v_add_co_ci_u32_e64 v33, null, v27, v14, s0
	global_load_dword v30, v[30:31], off
	global_load_dword v31, v[32:33], off
	s_waitcnt vmcnt(1)
	v_subrev_nc_u32_e32 v30, s36, v30
	s_waitcnt vmcnt(0)
	v_subrev_nc_u32_e32 v31, s37, v31
	v_cmpx_eq_u32_e64 v30, v31
	s_cbranch_execz .LBB7_12
; %bb.16:                               ;   in Loop: Header=BB7_14 Depth=3
	v_add_co_u32 v15, s0, v22, v15
	v_add_co_ci_u32_e64 v16, null, v23, v16, s0
	v_add_co_u32 v13, s0, v28, v13
	v_add_co_ci_u32_e64 v14, null, v29, v14, s0
	global_load_dword v15, v[15:16], off
	global_load_dword v13, v[13:14], off
	s_waitcnt vmcnt(0)
	v_fmac_f32_e32 v24, v15, v13
	s_branch .LBB7_12
.LBB7_17:                               ;   in Loop: Header=BB7_10 Depth=2
	s_or_b32 exec_lo, exec_lo, s43
.LBB7_18:                               ;   in Loop: Header=BB7_10 Depth=2
	s_or_b32 exec_lo, exec_lo, s42
	s_mov_b32 s1, exec_lo
	v_cmpx_ge_i32_e64 v12, v25
	s_xor_b32 s1, exec_lo, s1
	s_cbranch_execnz .LBB7_21
; %bb.19:                               ;   in Loop: Header=BB7_10 Depth=2
	s_andn2_saveexec_b32 s1, s1
	s_cbranch_execnz .LBB7_30
.LBB7_20:                               ;   in Loop: Header=BB7_10 Depth=2
	s_or_b32 exec_lo, exec_lo, s1
	s_mov_b32 s1, exec_lo
	v_cmpx_eq_u32_e64 v1, v10
	s_cbranch_execz .LBB7_9
	s_branch .LBB7_37
.LBB7_21:                               ;   in Loop: Header=BB7_10 Depth=2
	s_mov_b32 s42, exec_lo
	v_cmpx_lt_i32_e64 v2, v19
	s_cbranch_execz .LBB7_29
; %bb.22:                               ;   in Loop: Header=BB7_10 Depth=2
	s_mov_b32 s43, 0
                                        ; implicit-def: $sgpr44
                                        ; implicit-def: $sgpr46
                                        ; implicit-def: $sgpr45
	s_inst_prefetch 0x1
	s_branch .LBB7_24
	.p2align	6
.LBB7_23:                               ;   in Loop: Header=BB7_24 Depth=3
	s_or_b32 exec_lo, exec_lo, s47
	s_and_b32 s0, exec_lo, s46
	s_or_b32 s43, s0, s43
	s_andn2_b32 s0, s44, exec_lo
	s_and_b32 s44, s45, exec_lo
	s_or_b32 s44, s0, s44
	s_andn2_b32 exec_lo, exec_lo, s43
	s_cbranch_execz .LBB7_26
.LBB7_24:                               ;   Parent Loop BB7_6 Depth=1
                                        ;     Parent Loop BB7_10 Depth=2
                                        ; =>    This Inner Loop Header: Depth=3
	v_add_nc_u32_e32 v11, v4, v2
	s_or_b32 s45, s45, exec_lo
	s_or_b32 s46, s46, exec_lo
	s_mov_b32 s47, exec_lo
	v_ashrrev_i32_e32 v12, 31, v11
	v_lshlrev_b64 v[11:12], 2, v[11:12]
	v_add_co_u32 v13, s0, s20, v11
	v_add_co_ci_u32_e64 v14, null, s21, v12, s0
	global_load_dword v13, v[13:14], off
	s_waitcnt vmcnt(0)
	v_subrev_nc_u32_e32 v13, s36, v13
	v_cmpx_ne_u32_e64 v13, v10
	s_cbranch_execz .LBB7_23
; %bb.25:                               ;   in Loop: Header=BB7_24 Depth=3
	v_add_nc_u32_e32 v2, 1, v2
	s_andn2_b32 s46, s46, exec_lo
	s_andn2_b32 s45, s45, exec_lo
	v_cmp_ge_i32_e64 s0, v2, v19
	s_and_b32 s0, s0, exec_lo
	s_or_b32 s46, s46, s0
	s_branch .LBB7_23
.LBB7_26:                               ;   in Loop: Header=BB7_10 Depth=2
	s_inst_prefetch 0x2
	s_or_b32 exec_lo, exec_lo, s43
	s_and_saveexec_b32 s0, s44
	s_xor_b32 s43, exec_lo, s0
	s_cbranch_execz .LBB7_28
; %bb.27:                               ;   in Loop: Header=BB7_10 Depth=2
	v_add_co_u32 v11, s0, s22, v11
	v_add_co_ci_u32_e64 v12, null, s23, v12, s0
	v_add_co_u32 v13, s0, s2, v8
	v_add_co_ci_u32_e64 v14, null, s3, v9, s0
	global_load_dword v2, v[11:12], off
	global_load_dword v11, v[13:14], off
	s_waitcnt vmcnt(0)
	v_fmac_f32_e32 v24, v2, v11
.LBB7_28:                               ;   in Loop: Header=BB7_10 Depth=2
	s_or_b32 exec_lo, exec_lo, s43
.LBB7_29:                               ;   in Loop: Header=BB7_10 Depth=2
	s_or_b32 exec_lo, exec_lo, s42
                                        ; implicit-def: $vgpr12
                                        ; implicit-def: $vgpr11
                                        ; implicit-def: $vgpr25
	s_andn2_saveexec_b32 s1, s1
	s_cbranch_execz .LBB7_20
.LBB7_30:                               ;   in Loop: Header=BB7_10 Depth=2
	s_mov_b32 s42, 0
                                        ; implicit-def: $sgpr43
                                        ; implicit-def: $sgpr45
                                        ; implicit-def: $sgpr44
	s_inst_prefetch 0x1
	s_branch .LBB7_32
	.p2align	6
.LBB7_31:                               ;   in Loop: Header=BB7_32 Depth=3
	s_or_b32 exec_lo, exec_lo, s46
	s_and_b32 s0, exec_lo, s45
	s_or_b32 s42, s0, s42
	s_andn2_b32 s0, s43, exec_lo
	s_and_b32 s43, s44, exec_lo
	s_or_b32 s43, s0, s43
	s_andn2_b32 exec_lo, exec_lo, s42
	s_cbranch_execz .LBB7_34
.LBB7_32:                               ;   Parent Loop BB7_6 Depth=1
                                        ;     Parent Loop BB7_10 Depth=2
                                        ; =>    This Inner Loop Header: Depth=3
	v_add_nc_u32_e32 v13, v11, v12
	s_or_b32 s44, s44, exec_lo
	s_or_b32 s45, s45, exec_lo
	s_mov_b32 s46, exec_lo
	v_ashrrev_i32_e32 v14, 31, v13
	v_lshlrev_b64 v[13:14], 2, v[13:14]
	v_add_co_u32 v15, s0, s12, v13
	v_add_co_ci_u32_e64 v16, null, s13, v14, s0
	global_load_dword v2, v[15:16], off
	s_waitcnt vmcnt(0)
	v_subrev_nc_u32_e32 v2, s37, v2
	v_cmpx_ne_u32_e64 v2, v1
	s_cbranch_execz .LBB7_31
; %bb.33:                               ;   in Loop: Header=BB7_32 Depth=3
	v_add_nc_u32_e32 v12, 1, v12
	s_andn2_b32 s45, s45, exec_lo
	s_andn2_b32 s44, s44, exec_lo
	v_cmp_ge_i32_e64 s0, v12, v25
	s_and_b32 s0, s0, exec_lo
	s_or_b32 s45, s45, s0
	s_branch .LBB7_31
.LBB7_34:                               ;   in Loop: Header=BB7_10 Depth=2
	s_inst_prefetch 0x2
	s_or_b32 exec_lo, exec_lo, s42
	s_and_saveexec_b32 s0, s43
	s_xor_b32 s42, exec_lo, s0
	s_cbranch_execz .LBB7_36
; %bb.35:                               ;   in Loop: Header=BB7_10 Depth=2
	v_add_co_u32 v11, s0, s14, v13
	v_add_co_ci_u32_e64 v12, null, s15, v14, s0
	global_load_dword v2, v[11:12], off
	s_waitcnt vmcnt(0)
	v_add_f32_e32 v24, v24, v2
.LBB7_36:                               ;   in Loop: Header=BB7_10 Depth=2
	s_or_b32 exec_lo, exec_lo, s42
	s_or_b32 exec_lo, exec_lo, s1
	s_mov_b32 s1, exec_lo
	v_cmpx_eq_u32_e64 v1, v10
	s_cbranch_execz .LBB7_9
.LBB7_37:                               ;   in Loop: Header=BB7_10 Depth=2
	v_add_co_u32 v8, s0, s2, v8
	v_add_co_ci_u32_e64 v9, null, s3, v9, s0
	global_load_dword v2, v[8:9], off
	s_waitcnt vmcnt(0)
	v_add_f32_e32 v24, v24, v2
	s_branch .LBB7_9
.LBB7_38:
	s_or_b32 exec_lo, exec_lo, s38
.LBB7_39:
	s_or_b32 exec_lo, exec_lo, s33
.LBB7_40:
	s_or_b32 exec_lo, exec_lo, s6
	v_lshlrev_b32_e32 v1, 2, v0
	s_mov_b32 s0, exec_lo
	ds_write_b32 v1, v17
	s_waitcnt lgkmcnt(0)
	s_barrier
	buffer_gl0_inv
	v_cmpx_gt_u32_e32 0x200, v0
	s_cbranch_execz .LBB7_42
; %bb.41:
	ds_read2st64_b32 v[2:3], v1 offset1:8
	s_waitcnt lgkmcnt(0)
	v_cmp_lt_f32_e32 vcc_lo, v2, v3
	v_cndmask_b32_e32 v2, v2, v3, vcc_lo
	ds_write_b32 v1, v2
.LBB7_42:
	s_or_b32 exec_lo, exec_lo, s0
	s_mov_b32 s0, exec_lo
	s_waitcnt lgkmcnt(0)
	s_barrier
	buffer_gl0_inv
	v_cmpx_gt_u32_e32 0x100, v0
	s_cbranch_execz .LBB7_44
; %bb.43:
	ds_read2st64_b32 v[2:3], v1 offset1:4
	s_waitcnt lgkmcnt(0)
	v_cmp_lt_f32_e32 vcc_lo, v2, v3
	v_cndmask_b32_e32 v2, v2, v3, vcc_lo
	ds_write_b32 v1, v2
.LBB7_44:
	s_or_b32 exec_lo, exec_lo, s0
	s_mov_b32 s0, exec_lo
	;; [unrolled: 14-line block ×4, first 2 shown]
	s_waitcnt lgkmcnt(0)
	s_barrier
	buffer_gl0_inv
	v_cmpx_gt_u32_e32 32, v0
	s_cbranch_execz .LBB7_50
; %bb.49:
	ds_read2_b32 v[2:3], v1 offset1:32
	s_waitcnt lgkmcnt(0)
	v_cmp_lt_f32_e32 vcc_lo, v2, v3
	v_cndmask_b32_e32 v2, v2, v3, vcc_lo
	ds_write_b32 v1, v2
.LBB7_50:
	s_or_b32 exec_lo, exec_lo, s0
	s_mov_b32 s0, exec_lo
	s_waitcnt lgkmcnt(0)
	s_barrier
	buffer_gl0_inv
	v_cmpx_gt_u32_e32 16, v0
	s_cbranch_execz .LBB7_52
; %bb.51:
	ds_read2_b32 v[2:3], v1 offset1:16
	s_waitcnt lgkmcnt(0)
	v_cmp_lt_f32_e32 vcc_lo, v2, v3
	v_cndmask_b32_e32 v2, v2, v3, vcc_lo
	ds_write_b32 v1, v2
.LBB7_52:
	s_or_b32 exec_lo, exec_lo, s0
	s_mov_b32 s0, exec_lo
	;; [unrolled: 14-line block ×4, first 2 shown]
	s_waitcnt lgkmcnt(0)
	s_barrier
	buffer_gl0_inv
	v_cmpx_gt_u32_e32 2, v0
	s_cbranch_execz .LBB7_58
; %bb.57:
	ds_read2_b32 v[2:3], v1 offset1:2
	s_waitcnt lgkmcnt(0)
	v_cmp_lt_f32_e32 vcc_lo, v2, v3
	v_cndmask_b32_e32 v2, v2, v3, vcc_lo
	ds_write_b32 v1, v2
.LBB7_58:
	s_or_b32 exec_lo, exec_lo, s0
	v_cmp_eq_u32_e32 vcc_lo, 0, v0
	s_waitcnt lgkmcnt(0)
	s_barrier
	buffer_gl0_inv
	s_and_saveexec_b32 s1, vcc_lo
	s_cbranch_execz .LBB7_60
; %bb.59:
	v_mov_b32_e32 v2, 0
	ds_read_b64 v[0:1], v2
	s_waitcnt lgkmcnt(0)
	v_cmp_lt_f32_e64 s0, v0, v1
	v_cndmask_b32_e64 v0, v0, v1, s0
	ds_write_b32 v2, v0
.LBB7_60:
	s_or_b32 exec_lo, exec_lo, s1
	s_waitcnt lgkmcnt(0)
	s_barrier
	buffer_gl0_inv
	s_and_saveexec_b32 s0, vcc_lo
	s_cbranch_execz .LBB7_64
; %bb.61:
	v_mbcnt_lo_u32_b32 v0, exec_lo, 0
	s_mov_b32 s6, 0
	v_cmp_eq_u32_e32 vcc_lo, 0, v0
	s_and_b32 exec_lo, exec_lo, vcc_lo
	s_cbranch_execz .LBB7_64
; %bb.62:
	s_load_dwordx4 s[0:3], s[4:5], 0x88
	v_mov_b32_e32 v2, 0
	ds_read_b32 v0, v2
	s_waitcnt lgkmcnt(0)
	s_load_dword s2, s[2:3], 0x0
	s_load_dword s3, s[0:1], 0x0
	s_waitcnt lgkmcnt(0)
	v_div_scale_f32 v1, null, s2, s2, v0
	v_rcp_f32_e32 v3, v1
	v_fma_f32 v4, -v1, v3, 1.0
	v_fmac_f32_e32 v3, v4, v3
	v_div_scale_f32 v4, vcc_lo, v0, s2, v0
	v_mul_f32_e32 v5, v4, v3
	v_fma_f32 v6, -v1, v5, v4
	v_fmac_f32_e32 v5, v6, v3
	v_fma_f32 v1, -v1, v5, v4
	v_div_fmas_f32 v1, v1, v3, v5
	v_div_fixup_f32 v0, v1, s2, v0
	v_mov_b32_e32 v1, s3
	v_max_f32_e32 v3, v0, v0
.LBB7_63:                               ; =>This Inner Loop Header: Depth=1
	v_max_f32_e32 v0, v1, v1
	v_max_f32_e32 v0, v0, v3
	global_atomic_cmpswap v0, v2, v[0:1], s[0:1] glc
	s_waitcnt vmcnt(0)
	v_cmp_eq_u32_e32 vcc_lo, v0, v1
	v_mov_b32_e32 v1, v0
	s_or_b32 s6, vcc_lo, s6
	s_andn2_b32 exec_lo, exec_lo, s6
	s_cbranch_execnz .LBB7_63
.LBB7_64:
	s_endpgm
	.section	.rodata,"a",@progbits
	.p2align	6, 0x0
	.amdhsa_kernel _ZN9rocsparseL19kernel_nrm_residualILi1024ELi1EfiiEEvT3_T2_PKS2_S4_PKS1_PKT1_21rocsparse_index_base_S4_S4_S6_S9_SA_S4_S4_S6_S9_SA_S9_PNS_15floating_traitsIS7_E6data_tEPKSD_
		.amdhsa_group_segment_fixed_size 4096
		.amdhsa_private_segment_fixed_size 0
		.amdhsa_kernarg_size 152
		.amdhsa_user_sgpr_count 6
		.amdhsa_user_sgpr_private_segment_buffer 1
		.amdhsa_user_sgpr_dispatch_ptr 0
		.amdhsa_user_sgpr_queue_ptr 0
		.amdhsa_user_sgpr_kernarg_segment_ptr 1
		.amdhsa_user_sgpr_dispatch_id 0
		.amdhsa_user_sgpr_flat_scratch_init 0
		.amdhsa_user_sgpr_private_segment_size 0
		.amdhsa_wavefront_size32 1
		.amdhsa_uses_dynamic_stack 0
		.amdhsa_system_sgpr_private_segment_wavefront_offset 0
		.amdhsa_system_sgpr_workgroup_id_x 1
		.amdhsa_system_sgpr_workgroup_id_y 0
		.amdhsa_system_sgpr_workgroup_id_z 0
		.amdhsa_system_sgpr_workgroup_info 0
		.amdhsa_system_vgpr_workitem_id 0
		.amdhsa_next_free_vgpr 34
		.amdhsa_next_free_sgpr 48
		.amdhsa_reserve_vcc 1
		.amdhsa_reserve_flat_scratch 0
		.amdhsa_float_round_mode_32 0
		.amdhsa_float_round_mode_16_64 0
		.amdhsa_float_denorm_mode_32 3
		.amdhsa_float_denorm_mode_16_64 3
		.amdhsa_dx10_clamp 1
		.amdhsa_ieee_mode 1
		.amdhsa_fp16_overflow 0
		.amdhsa_workgroup_processor_mode 1
		.amdhsa_memory_ordered 1
		.amdhsa_forward_progress 1
		.amdhsa_shared_vgpr_count 0
		.amdhsa_exception_fp_ieee_invalid_op 0
		.amdhsa_exception_fp_denorm_src 0
		.amdhsa_exception_fp_ieee_div_zero 0
		.amdhsa_exception_fp_ieee_overflow 0
		.amdhsa_exception_fp_ieee_underflow 0
		.amdhsa_exception_fp_ieee_inexact 0
		.amdhsa_exception_int_div_zero 0
	.end_amdhsa_kernel
	.section	.text._ZN9rocsparseL19kernel_nrm_residualILi1024ELi1EfiiEEvT3_T2_PKS2_S4_PKS1_PKT1_21rocsparse_index_base_S4_S4_S6_S9_SA_S4_S4_S6_S9_SA_S9_PNS_15floating_traitsIS7_E6data_tEPKSD_,"axG",@progbits,_ZN9rocsparseL19kernel_nrm_residualILi1024ELi1EfiiEEvT3_T2_PKS2_S4_PKS1_PKT1_21rocsparse_index_base_S4_S4_S6_S9_SA_S4_S4_S6_S9_SA_S9_PNS_15floating_traitsIS7_E6data_tEPKSD_,comdat
.Lfunc_end7:
	.size	_ZN9rocsparseL19kernel_nrm_residualILi1024ELi1EfiiEEvT3_T2_PKS2_S4_PKS1_PKT1_21rocsparse_index_base_S4_S4_S6_S9_SA_S4_S4_S6_S9_SA_S9_PNS_15floating_traitsIS7_E6data_tEPKSD_, .Lfunc_end7-_ZN9rocsparseL19kernel_nrm_residualILi1024ELi1EfiiEEvT3_T2_PKS2_S4_PKS1_PKT1_21rocsparse_index_base_S4_S4_S6_S9_SA_S4_S4_S6_S9_SA_S9_PNS_15floating_traitsIS7_E6data_tEPKSD_
                                        ; -- End function
	.set _ZN9rocsparseL19kernel_nrm_residualILi1024ELi1EfiiEEvT3_T2_PKS2_S4_PKS1_PKT1_21rocsparse_index_base_S4_S4_S6_S9_SA_S4_S4_S6_S9_SA_S9_PNS_15floating_traitsIS7_E6data_tEPKSD_.num_vgpr, 34
	.set _ZN9rocsparseL19kernel_nrm_residualILi1024ELi1EfiiEEvT3_T2_PKS2_S4_PKS1_PKT1_21rocsparse_index_base_S4_S4_S6_S9_SA_S4_S4_S6_S9_SA_S9_PNS_15floating_traitsIS7_E6data_tEPKSD_.num_agpr, 0
	.set _ZN9rocsparseL19kernel_nrm_residualILi1024ELi1EfiiEEvT3_T2_PKS2_S4_PKS1_PKT1_21rocsparse_index_base_S4_S4_S6_S9_SA_S4_S4_S6_S9_SA_S9_PNS_15floating_traitsIS7_E6data_tEPKSD_.numbered_sgpr, 48
	.set _ZN9rocsparseL19kernel_nrm_residualILi1024ELi1EfiiEEvT3_T2_PKS2_S4_PKS1_PKT1_21rocsparse_index_base_S4_S4_S6_S9_SA_S4_S4_S6_S9_SA_S9_PNS_15floating_traitsIS7_E6data_tEPKSD_.num_named_barrier, 0
	.set _ZN9rocsparseL19kernel_nrm_residualILi1024ELi1EfiiEEvT3_T2_PKS2_S4_PKS1_PKT1_21rocsparse_index_base_S4_S4_S6_S9_SA_S4_S4_S6_S9_SA_S9_PNS_15floating_traitsIS7_E6data_tEPKSD_.private_seg_size, 0
	.set _ZN9rocsparseL19kernel_nrm_residualILi1024ELi1EfiiEEvT3_T2_PKS2_S4_PKS1_PKT1_21rocsparse_index_base_S4_S4_S6_S9_SA_S4_S4_S6_S9_SA_S9_PNS_15floating_traitsIS7_E6data_tEPKSD_.uses_vcc, 1
	.set _ZN9rocsparseL19kernel_nrm_residualILi1024ELi1EfiiEEvT3_T2_PKS2_S4_PKS1_PKT1_21rocsparse_index_base_S4_S4_S6_S9_SA_S4_S4_S6_S9_SA_S9_PNS_15floating_traitsIS7_E6data_tEPKSD_.uses_flat_scratch, 0
	.set _ZN9rocsparseL19kernel_nrm_residualILi1024ELi1EfiiEEvT3_T2_PKS2_S4_PKS1_PKT1_21rocsparse_index_base_S4_S4_S6_S9_SA_S4_S4_S6_S9_SA_S9_PNS_15floating_traitsIS7_E6data_tEPKSD_.has_dyn_sized_stack, 0
	.set _ZN9rocsparseL19kernel_nrm_residualILi1024ELi1EfiiEEvT3_T2_PKS2_S4_PKS1_PKT1_21rocsparse_index_base_S4_S4_S6_S9_SA_S4_S4_S6_S9_SA_S9_PNS_15floating_traitsIS7_E6data_tEPKSD_.has_recursion, 0
	.set _ZN9rocsparseL19kernel_nrm_residualILi1024ELi1EfiiEEvT3_T2_PKS2_S4_PKS1_PKT1_21rocsparse_index_base_S4_S4_S6_S9_SA_S4_S4_S6_S9_SA_S9_PNS_15floating_traitsIS7_E6data_tEPKSD_.has_indirect_call, 0
	.section	.AMDGPU.csdata,"",@progbits
; Kernel info:
; codeLenInByte = 2456
; TotalNumSgprs: 50
; NumVgprs: 34
; ScratchSize: 0
; MemoryBound: 0
; FloatMode: 240
; IeeeMode: 1
; LDSByteSize: 4096 bytes/workgroup (compile time only)
; SGPRBlocks: 0
; VGPRBlocks: 4
; NumSGPRsForWavesPerEU: 50
; NumVGPRsForWavesPerEU: 34
; Occupancy: 16
; WaveLimiterHint : 1
; COMPUTE_PGM_RSRC2:SCRATCH_EN: 0
; COMPUTE_PGM_RSRC2:USER_SGPR: 6
; COMPUTE_PGM_RSRC2:TRAP_HANDLER: 0
; COMPUTE_PGM_RSRC2:TGID_X_EN: 1
; COMPUTE_PGM_RSRC2:TGID_Y_EN: 0
; COMPUTE_PGM_RSRC2:TGID_Z_EN: 0
; COMPUTE_PGM_RSRC2:TIDIG_COMP_CNT: 0
	.section	.text._ZN9rocsparseL19kernel_nrm_residualILi1024ELi2EfiiEEvT3_T2_PKS2_S4_PKS1_PKT1_21rocsparse_index_base_S4_S4_S6_S9_SA_S4_S4_S6_S9_SA_S9_PNS_15floating_traitsIS7_E6data_tEPKSD_,"axG",@progbits,_ZN9rocsparseL19kernel_nrm_residualILi1024ELi2EfiiEEvT3_T2_PKS2_S4_PKS1_PKT1_21rocsparse_index_base_S4_S4_S6_S9_SA_S4_S4_S6_S9_SA_S9_PNS_15floating_traitsIS7_E6data_tEPKSD_,comdat
	.globl	_ZN9rocsparseL19kernel_nrm_residualILi1024ELi2EfiiEEvT3_T2_PKS2_S4_PKS1_PKT1_21rocsparse_index_base_S4_S4_S6_S9_SA_S4_S4_S6_S9_SA_S9_PNS_15floating_traitsIS7_E6data_tEPKSD_ ; -- Begin function _ZN9rocsparseL19kernel_nrm_residualILi1024ELi2EfiiEEvT3_T2_PKS2_S4_PKS1_PKT1_21rocsparse_index_base_S4_S4_S6_S9_SA_S4_S4_S6_S9_SA_S9_PNS_15floating_traitsIS7_E6data_tEPKSD_
	.p2align	8
	.type	_ZN9rocsparseL19kernel_nrm_residualILi1024ELi2EfiiEEvT3_T2_PKS2_S4_PKS1_PKT1_21rocsparse_index_base_S4_S4_S6_S9_SA_S4_S4_S6_S9_SA_S9_PNS_15floating_traitsIS7_E6data_tEPKSD_,@function
_ZN9rocsparseL19kernel_nrm_residualILi1024ELi2EfiiEEvT3_T2_PKS2_S4_PKS1_PKT1_21rocsparse_index_base_S4_S4_S6_S9_SA_S4_S4_S6_S9_SA_S9_PNS_15floating_traitsIS7_E6data_tEPKSD_: ; @_ZN9rocsparseL19kernel_nrm_residualILi1024ELi2EfiiEEvT3_T2_PKS2_S4_PKS1_PKT1_21rocsparse_index_base_S4_S4_S6_S9_SA_S4_S4_S6_S9_SA_S9_PNS_15floating_traitsIS7_E6data_tEPKSD_
; %bb.0:
	s_load_dword s7, s[4:5], 0x0
	v_lshrrev_b32_e32 v18, 1, v0
	s_lshl_b32 s34, s6, 10
	v_and_b32_e32 v19, 1, v0
	v_mov_b32_e32 v20, 0
	s_mov_b32 s6, exec_lo
	v_or_b32_e32 v1, s34, v18
	s_waitcnt lgkmcnt(0)
	v_cmpx_gt_i32_e64 s7, v1
	s_cbranch_execz .LBB8_40
; %bb.1:
	v_mov_b32_e32 v20, 0
	s_addk_i32 s34, 0x400
	s_mov_b32 s33, exec_lo
	v_cmpx_gt_u32_e64 s34, v1
	s_cbranch_execz .LBB8_39
; %bb.2:
	s_clause 0x6
	s_load_dword s35, s[4:5], 0x28
	s_load_dwordx8 s[8:15], s[4:5], 0x58
	s_load_dwordx8 s[16:23], s[4:5], 0x30
	;; [unrolled: 1-line block ×3, first 2 shown]
	s_load_dword s36, s[4:5], 0x50
	s_load_dwordx2 s[2:3], s[4:5], 0x80
	s_load_dword s37, s[4:5], 0x78
	v_mov_b32_e32 v3, 0
	v_mov_b32_e32 v20, 0
	s_mov_b32 s38, 0
	s_waitcnt lgkmcnt(0)
	v_subrev_nc_u32_e32 v21, s35, v19
	s_branch .LBB8_6
.LBB8_3:                                ;   in Loop: Header=BB8_6 Depth=1
	s_or_b32 exec_lo, exec_lo, s41
.LBB8_4:                                ;   in Loop: Header=BB8_6 Depth=1
	s_or_b32 exec_lo, exec_lo, s40
.LBB8_5:                                ;   in Loop: Header=BB8_6 Depth=1
	s_or_b32 exec_lo, exec_lo, s39
	v_add_nc_u32_e32 v1, 0x200, v1
	v_cmp_le_u32_e32 vcc_lo, s34, v1
	s_or_b32 s38, vcc_lo, s38
	s_andn2_b32 exec_lo, exec_lo, s38
	s_cbranch_execz .LBB8_38
.LBB8_6:                                ; =>This Loop Header: Depth=1
                                        ;     Child Loop BB8_10 Depth 2
                                        ;       Child Loop BB8_14 Depth 3
                                        ;       Child Loop BB8_24 Depth 3
	;; [unrolled: 1-line block ×3, first 2 shown]
	s_mov_b32 s39, exec_lo
	v_cmpx_gt_i32_e64 s7, v1
	s_cbranch_execz .LBB8_5
; %bb.7:                                ;   in Loop: Header=BB8_6 Depth=1
	v_ashrrev_i32_e32 v2, 31, v1
	s_mov_b32 s40, exec_lo
	v_lshlrev_b64 v[5:6], 2, v[1:2]
	v_add_co_u32 v7, vcc_lo, s24, v5
	v_add_co_ci_u32_e64 v8, null, s25, v6, vcc_lo
	v_add_co_u32 v9, vcc_lo, s26, v5
	v_add_co_ci_u32_e64 v10, null, s27, v6, vcc_lo
	global_load_dword v2, v[7:8], off
	global_load_dword v7, v[9:10], off
	s_waitcnt vmcnt(1)
	v_add_nc_u32_e32 v4, v21, v2
	s_waitcnt vmcnt(0)
	v_subrev_nc_u32_e32 v22, s35, v7
	v_cmpx_lt_i32_e64 v4, v22
	s_cbranch_execz .LBB8_4
; %bb.8:                                ;   in Loop: Header=BB8_6 Depth=1
	v_add_co_u32 v7, vcc_lo, s16, v5
	v_add_co_ci_u32_e64 v8, null, s17, v6, vcc_lo
	v_add_co_u32 v5, vcc_lo, s18, v5
	v_add_co_ci_u32_e64 v6, null, s19, v6, vcc_lo
	global_load_dword v2, v[7:8], off
	s_mov_b32 s41, 0
	global_load_dword v5, v[5:6], off
	s_waitcnt vmcnt(1)
	v_subrev_nc_u32_e32 v6, s36, v2
	s_waitcnt vmcnt(0)
	v_sub_nc_u32_e32 v23, v5, v2
	v_ashrrev_i32_e32 v7, 31, v6
	v_lshlrev_b64 v[7:8], 2, v[6:7]
	v_add_co_u32 v24, vcc_lo, s20, v7
	v_add_co_ci_u32_e64 v25, null, s21, v8, vcc_lo
	v_add_co_u32 v26, vcc_lo, s22, v7
	v_add_co_ci_u32_e64 v27, null, s23, v8, vcc_lo
	v_cmp_lt_i32_e32 vcc_lo, 0, v23
	s_branch .LBB8_10
.LBB8_9:                                ;   in Loop: Header=BB8_10 Depth=2
	s_or_b32 exec_lo, exec_lo, s1
	v_add_co_u32 v7, s0, s30, v7
	v_add_co_ci_u32_e64 v8, null, s31, v8, s0
	v_add_nc_u32_e32 v4, 2, v4
	global_load_dword v2, v[7:8], off
	v_cmp_ge_i32_e64 s0, v4, v22
	s_waitcnt vmcnt(0)
	v_sub_f32_e32 v2, v2, v5
	v_cmp_nlg_f32_e64 s1, 0x7f800000, |v2|
	v_cmp_gt_f32_e64 s42, v20, |v2|
	s_or_b32 s1, s1, s42
	s_or_b32 s41, s0, s41
	v_cndmask_b32_e64 v20, |v2|, v20, s1
	s_andn2_b32 exec_lo, exec_lo, s41
	s_cbranch_execz .LBB8_3
.LBB8_10:                               ;   Parent Loop BB8_6 Depth=1
                                        ; =>  This Loop Header: Depth=2
                                        ;       Child Loop BB8_14 Depth 3
                                        ;       Child Loop BB8_24 Depth 3
	;; [unrolled: 1-line block ×3, first 2 shown]
	v_ashrrev_i32_e32 v5, 31, v4
	v_lshlrev_b64 v[7:8], 2, v[4:5]
	v_mov_b32_e32 v5, 0
	v_add_co_u32 v9, s0, s28, v7
	v_add_co_ci_u32_e64 v10, null, s29, v8, s0
	global_load_dword v2, v[9:10], off
	s_waitcnt vmcnt(0)
	v_subrev_nc_u32_e32 v11, s35, v2
	v_ashrrev_i32_e32 v12, 31, v11
	v_lshlrev_b64 v[9:10], 2, v[11:12]
	v_add_co_u32 v12, s0, s8, v9
	v_add_co_ci_u32_e64 v13, null, s9, v10, s0
	v_add_co_u32 v14, s0, s10, v9
	v_add_co_ci_u32_e64 v15, null, s11, v10, s0
	global_load_dword v2, v[12:13], off
	global_load_dword v14, v[14:15], off
	v_mov_b32_e32 v13, 0
	s_waitcnt vmcnt(1)
	v_subrev_nc_u32_e32 v12, s37, v2
	s_waitcnt vmcnt(0)
	v_sub_nc_u32_e32 v28, v14, v2
	v_mov_b32_e32 v2, v13
	s_and_saveexec_b32 s42, vcc_lo
	s_cbranch_execz .LBB8_18
; %bb.11:                               ;   in Loop: Header=BB8_10 Depth=2
	v_ashrrev_i32_e32 v13, 31, v12
	v_mov_b32_e32 v5, 0
	v_mov_b32_e32 v2, 0
	s_mov_b32 s43, 0
                                        ; implicit-def: $sgpr44
	v_lshlrev_b64 v[13:14], 2, v[12:13]
	v_add_co_u32 v29, s0, s12, v13
	v_add_co_ci_u32_e64 v30, null, s13, v14, s0
	v_add_co_u32 v31, s0, s14, v13
	v_add_co_ci_u32_e64 v32, null, s15, v14, s0
	v_mov_b32_e32 v13, 0
	s_branch .LBB8_14
.LBB8_12:                               ;   in Loop: Header=BB8_14 Depth=3
	s_or_b32 exec_lo, exec_lo, s1
	v_cmp_le_i32_e64 s0, v33, v34
	v_cmp_ge_i32_e64 s1, v33, v34
	v_add_co_ci_u32_e64 v2, null, 0, v2, s0
	v_add_co_ci_u32_e64 v13, null, 0, v13, s1
	s_andn2_b32 s1, s44, exec_lo
	v_cmp_ge_i32_e64 s0, v2, v23
	s_and_b32 s0, s0, exec_lo
	s_or_b32 s44, s1, s0
.LBB8_13:                               ;   in Loop: Header=BB8_14 Depth=3
	s_or_b32 exec_lo, exec_lo, s45
	s_and_b32 s0, exec_lo, s44
	s_or_b32 s43, s0, s43
	s_andn2_b32 exec_lo, exec_lo, s43
	s_cbranch_execz .LBB8_17
.LBB8_14:                               ;   Parent Loop BB8_6 Depth=1
                                        ;     Parent Loop BB8_10 Depth=2
                                        ; =>    This Inner Loop Header: Depth=3
	s_or_b32 s44, s44, exec_lo
	s_mov_b32 s45, exec_lo
	v_cmpx_lt_i32_e64 v13, v28
	s_cbranch_execz .LBB8_13
; %bb.15:                               ;   in Loop: Header=BB8_14 Depth=3
	v_mov_b32_e32 v14, v3
	v_lshlrev_b64 v[16:17], 2, v[2:3]
	s_mov_b32 s1, exec_lo
	v_lshlrev_b64 v[14:15], 2, v[13:14]
	v_add_co_u32 v33, s0, v24, v16
	v_add_co_ci_u32_e64 v34, null, v25, v17, s0
	v_add_co_u32 v35, s0, v29, v14
	v_add_co_ci_u32_e64 v36, null, v30, v15, s0
	global_load_dword v33, v[33:34], off
	global_load_dword v34, v[35:36], off
	s_waitcnt vmcnt(1)
	v_subrev_nc_u32_e32 v33, s36, v33
	s_waitcnt vmcnt(0)
	v_subrev_nc_u32_e32 v34, s37, v34
	v_cmpx_eq_u32_e64 v33, v34
	s_cbranch_execz .LBB8_12
; %bb.16:                               ;   in Loop: Header=BB8_14 Depth=3
	v_add_co_u32 v16, s0, v26, v16
	v_add_co_ci_u32_e64 v17, null, v27, v17, s0
	v_add_co_u32 v14, s0, v31, v14
	v_add_co_ci_u32_e64 v15, null, v32, v15, s0
	global_load_dword v16, v[16:17], off
	global_load_dword v14, v[14:15], off
	s_waitcnt vmcnt(0)
	v_fmac_f32_e32 v5, v16, v14
	s_branch .LBB8_12
.LBB8_17:                               ;   in Loop: Header=BB8_10 Depth=2
	s_or_b32 exec_lo, exec_lo, s43
.LBB8_18:                               ;   in Loop: Header=BB8_10 Depth=2
	s_or_b32 exec_lo, exec_lo, s42
	s_mov_b32 s1, exec_lo
	v_cmpx_ge_i32_e64 v13, v28
	s_xor_b32 s1, exec_lo, s1
	s_cbranch_execnz .LBB8_21
; %bb.19:                               ;   in Loop: Header=BB8_10 Depth=2
	s_andn2_saveexec_b32 s1, s1
	s_cbranch_execnz .LBB8_30
.LBB8_20:                               ;   in Loop: Header=BB8_10 Depth=2
	s_or_b32 exec_lo, exec_lo, s1
	s_mov_b32 s1, exec_lo
	v_cmpx_eq_u32_e64 v1, v11
	s_cbranch_execz .LBB8_9
	s_branch .LBB8_37
.LBB8_21:                               ;   in Loop: Header=BB8_10 Depth=2
	s_mov_b32 s42, exec_lo
	v_cmpx_lt_i32_e64 v2, v23
	s_cbranch_execz .LBB8_29
; %bb.22:                               ;   in Loop: Header=BB8_10 Depth=2
	s_mov_b32 s43, 0
                                        ; implicit-def: $sgpr44
                                        ; implicit-def: $sgpr46
                                        ; implicit-def: $sgpr45
	s_inst_prefetch 0x1
	s_branch .LBB8_24
	.p2align	6
.LBB8_23:                               ;   in Loop: Header=BB8_24 Depth=3
	s_or_b32 exec_lo, exec_lo, s47
	s_and_b32 s0, exec_lo, s46
	s_or_b32 s43, s0, s43
	s_andn2_b32 s0, s44, exec_lo
	s_and_b32 s44, s45, exec_lo
	s_or_b32 s44, s0, s44
	s_andn2_b32 exec_lo, exec_lo, s43
	s_cbranch_execz .LBB8_26
.LBB8_24:                               ;   Parent Loop BB8_6 Depth=1
                                        ;     Parent Loop BB8_10 Depth=2
                                        ; =>    This Inner Loop Header: Depth=3
	v_add_nc_u32_e32 v12, v6, v2
	s_or_b32 s45, s45, exec_lo
	s_or_b32 s46, s46, exec_lo
	s_mov_b32 s47, exec_lo
	v_ashrrev_i32_e32 v13, 31, v12
	v_lshlrev_b64 v[12:13], 2, v[12:13]
	v_add_co_u32 v14, s0, s20, v12
	v_add_co_ci_u32_e64 v15, null, s21, v13, s0
	global_load_dword v14, v[14:15], off
	s_waitcnt vmcnt(0)
	v_subrev_nc_u32_e32 v14, s36, v14
	v_cmpx_ne_u32_e64 v14, v11
	s_cbranch_execz .LBB8_23
; %bb.25:                               ;   in Loop: Header=BB8_24 Depth=3
	v_add_nc_u32_e32 v2, 1, v2
	s_andn2_b32 s46, s46, exec_lo
	s_andn2_b32 s45, s45, exec_lo
	v_cmp_ge_i32_e64 s0, v2, v23
	s_and_b32 s0, s0, exec_lo
	s_or_b32 s46, s46, s0
	s_branch .LBB8_23
.LBB8_26:                               ;   in Loop: Header=BB8_10 Depth=2
	s_inst_prefetch 0x2
	s_or_b32 exec_lo, exec_lo, s43
	s_and_saveexec_b32 s0, s44
	s_xor_b32 s43, exec_lo, s0
	s_cbranch_execz .LBB8_28
; %bb.27:                               ;   in Loop: Header=BB8_10 Depth=2
	v_add_co_u32 v12, s0, s22, v12
	v_add_co_ci_u32_e64 v13, null, s23, v13, s0
	v_add_co_u32 v14, s0, s2, v9
	v_add_co_ci_u32_e64 v15, null, s3, v10, s0
	global_load_dword v2, v[12:13], off
	global_load_dword v12, v[14:15], off
	s_waitcnt vmcnt(0)
	v_fmac_f32_e32 v5, v2, v12
.LBB8_28:                               ;   in Loop: Header=BB8_10 Depth=2
	s_or_b32 exec_lo, exec_lo, s43
.LBB8_29:                               ;   in Loop: Header=BB8_10 Depth=2
	s_or_b32 exec_lo, exec_lo, s42
                                        ; implicit-def: $vgpr13
                                        ; implicit-def: $vgpr12
                                        ; implicit-def: $vgpr28
	s_andn2_saveexec_b32 s1, s1
	s_cbranch_execz .LBB8_20
.LBB8_30:                               ;   in Loop: Header=BB8_10 Depth=2
	s_mov_b32 s42, 0
                                        ; implicit-def: $sgpr43
                                        ; implicit-def: $sgpr45
                                        ; implicit-def: $sgpr44
	s_inst_prefetch 0x1
	s_branch .LBB8_32
	.p2align	6
.LBB8_31:                               ;   in Loop: Header=BB8_32 Depth=3
	s_or_b32 exec_lo, exec_lo, s46
	s_and_b32 s0, exec_lo, s45
	s_or_b32 s42, s0, s42
	s_andn2_b32 s0, s43, exec_lo
	s_and_b32 s43, s44, exec_lo
	s_or_b32 s43, s0, s43
	s_andn2_b32 exec_lo, exec_lo, s42
	s_cbranch_execz .LBB8_34
.LBB8_32:                               ;   Parent Loop BB8_6 Depth=1
                                        ;     Parent Loop BB8_10 Depth=2
                                        ; =>    This Inner Loop Header: Depth=3
	v_add_nc_u32_e32 v14, v12, v13
	s_or_b32 s44, s44, exec_lo
	s_or_b32 s45, s45, exec_lo
	s_mov_b32 s46, exec_lo
	v_ashrrev_i32_e32 v15, 31, v14
	v_lshlrev_b64 v[14:15], 2, v[14:15]
	v_add_co_u32 v16, s0, s12, v14
	v_add_co_ci_u32_e64 v17, null, s13, v15, s0
	global_load_dword v2, v[16:17], off
	s_waitcnt vmcnt(0)
	v_subrev_nc_u32_e32 v2, s37, v2
	v_cmpx_ne_u32_e64 v2, v1
	s_cbranch_execz .LBB8_31
; %bb.33:                               ;   in Loop: Header=BB8_32 Depth=3
	v_add_nc_u32_e32 v13, 1, v13
	s_andn2_b32 s45, s45, exec_lo
	s_andn2_b32 s44, s44, exec_lo
	v_cmp_ge_i32_e64 s0, v13, v28
	s_and_b32 s0, s0, exec_lo
	s_or_b32 s45, s45, s0
	s_branch .LBB8_31
.LBB8_34:                               ;   in Loop: Header=BB8_10 Depth=2
	s_inst_prefetch 0x2
	s_or_b32 exec_lo, exec_lo, s42
	s_and_saveexec_b32 s0, s43
	s_xor_b32 s42, exec_lo, s0
	s_cbranch_execz .LBB8_36
; %bb.35:                               ;   in Loop: Header=BB8_10 Depth=2
	v_add_co_u32 v12, s0, s14, v14
	v_add_co_ci_u32_e64 v13, null, s15, v15, s0
	global_load_dword v2, v[12:13], off
	s_waitcnt vmcnt(0)
	v_add_f32_e32 v5, v5, v2
.LBB8_36:                               ;   in Loop: Header=BB8_10 Depth=2
	s_or_b32 exec_lo, exec_lo, s42
	s_or_b32 exec_lo, exec_lo, s1
	s_mov_b32 s1, exec_lo
	v_cmpx_eq_u32_e64 v1, v11
	s_cbranch_execz .LBB8_9
.LBB8_37:                               ;   in Loop: Header=BB8_10 Depth=2
	v_add_co_u32 v9, s0, s2, v9
	v_add_co_ci_u32_e64 v10, null, s3, v10, s0
	global_load_dword v2, v[9:10], off
	s_waitcnt vmcnt(0)
	v_add_f32_e32 v5, v5, v2
	s_branch .LBB8_9
.LBB8_38:
	s_or_b32 exec_lo, exec_lo, s38
.LBB8_39:
	s_or_b32 exec_lo, exec_lo, s33
.LBB8_40:
	s_or_b32 exec_lo, exec_lo, s6
	v_mbcnt_lo_u32_b32 v1, -1, 0
	s_mov_b32 s0, exec_lo
	v_xor_b32_e32 v2, 1, v1
	v_cmp_gt_i32_e32 vcc_lo, 32, v2
	v_cndmask_b32_e32 v1, v1, v2, vcc_lo
	v_lshlrev_b32_e32 v1, 2, v1
	ds_bpermute_b32 v1, v1, v20
	v_cmpx_ne_u32_e32 0, v19
	s_cbranch_execz .LBB8_42
; %bb.41:
	s_waitcnt lgkmcnt(0)
	v_cmp_lt_f32_e32 vcc_lo, v20, v1
	v_lshlrev_b32_e32 v2, 2, v18
	v_cndmask_b32_e32 v1, v20, v1, vcc_lo
	ds_write_b32 v2, v1
.LBB8_42:
	s_or_b32 exec_lo, exec_lo, s0
	s_waitcnt lgkmcnt(0)
	v_lshlrev_b32_e32 v1, 2, v0
	s_mov_b32 s0, exec_lo
	s_barrier
	buffer_gl0_inv
	v_cmpx_gt_u32_e32 0x100, v0
	s_cbranch_execz .LBB8_44
; %bb.43:
	ds_read2st64_b32 v[2:3], v1 offset1:4
	s_waitcnt lgkmcnt(0)
	v_cmp_lt_f32_e32 vcc_lo, v2, v3
	v_cndmask_b32_e32 v2, v2, v3, vcc_lo
	ds_write_b32 v1, v2
.LBB8_44:
	s_or_b32 exec_lo, exec_lo, s0
	s_mov_b32 s0, exec_lo
	s_waitcnt lgkmcnt(0)
	s_barrier
	buffer_gl0_inv
	v_cmpx_gt_u32_e32 0x80, v0
	s_cbranch_execz .LBB8_46
; %bb.45:
	ds_read2st64_b32 v[2:3], v1 offset1:2
	s_waitcnt lgkmcnt(0)
	v_cmp_lt_f32_e32 vcc_lo, v2, v3
	v_cndmask_b32_e32 v2, v2, v3, vcc_lo
	ds_write_b32 v1, v2
.LBB8_46:
	s_or_b32 exec_lo, exec_lo, s0
	s_mov_b32 s0, exec_lo
	s_waitcnt lgkmcnt(0)
	;; [unrolled: 14-line block ×3, first 2 shown]
	s_barrier
	buffer_gl0_inv
	v_cmpx_gt_u32_e32 32, v0
	s_cbranch_execz .LBB8_50
; %bb.49:
	ds_read2_b32 v[2:3], v1 offset1:32
	s_waitcnt lgkmcnt(0)
	v_cmp_lt_f32_e32 vcc_lo, v2, v3
	v_cndmask_b32_e32 v2, v2, v3, vcc_lo
	ds_write_b32 v1, v2
.LBB8_50:
	s_or_b32 exec_lo, exec_lo, s0
	s_mov_b32 s0, exec_lo
	s_waitcnt lgkmcnt(0)
	s_barrier
	buffer_gl0_inv
	v_cmpx_gt_u32_e32 16, v0
	s_cbranch_execz .LBB8_52
; %bb.51:
	ds_read2_b32 v[2:3], v1 offset1:16
	s_waitcnt lgkmcnt(0)
	v_cmp_lt_f32_e32 vcc_lo, v2, v3
	v_cndmask_b32_e32 v2, v2, v3, vcc_lo
	ds_write_b32 v1, v2
.LBB8_52:
	s_or_b32 exec_lo, exec_lo, s0
	s_mov_b32 s0, exec_lo
	s_waitcnt lgkmcnt(0)
	;; [unrolled: 14-line block ×4, first 2 shown]
	s_barrier
	buffer_gl0_inv
	v_cmpx_gt_u32_e32 2, v0
	s_cbranch_execz .LBB8_58
; %bb.57:
	ds_read2_b32 v[2:3], v1 offset1:2
	s_waitcnt lgkmcnt(0)
	v_cmp_lt_f32_e32 vcc_lo, v2, v3
	v_cndmask_b32_e32 v2, v2, v3, vcc_lo
	ds_write_b32 v1, v2
.LBB8_58:
	s_or_b32 exec_lo, exec_lo, s0
	v_cmp_eq_u32_e32 vcc_lo, 0, v0
	s_waitcnt lgkmcnt(0)
	s_barrier
	buffer_gl0_inv
	s_and_saveexec_b32 s1, vcc_lo
	s_cbranch_execz .LBB8_60
; %bb.59:
	v_mov_b32_e32 v2, 0
	ds_read_b64 v[0:1], v2
	s_waitcnt lgkmcnt(0)
	v_cmp_lt_f32_e64 s0, v0, v1
	v_cndmask_b32_e64 v0, v0, v1, s0
	ds_write_b32 v2, v0
.LBB8_60:
	s_or_b32 exec_lo, exec_lo, s1
	s_waitcnt lgkmcnt(0)
	s_barrier
	buffer_gl0_inv
	s_and_saveexec_b32 s0, vcc_lo
	s_cbranch_execz .LBB8_64
; %bb.61:
	v_mbcnt_lo_u32_b32 v0, exec_lo, 0
	s_mov_b32 s6, 0
	v_cmp_eq_u32_e32 vcc_lo, 0, v0
	s_and_b32 exec_lo, exec_lo, vcc_lo
	s_cbranch_execz .LBB8_64
; %bb.62:
	s_load_dwordx4 s[0:3], s[4:5], 0x88
	v_mov_b32_e32 v2, 0
	ds_read_b32 v0, v2
	s_waitcnt lgkmcnt(0)
	s_load_dword s2, s[2:3], 0x0
	s_load_dword s3, s[0:1], 0x0
	s_waitcnt lgkmcnt(0)
	v_div_scale_f32 v1, null, s2, s2, v0
	v_rcp_f32_e32 v3, v1
	v_fma_f32 v4, -v1, v3, 1.0
	v_fmac_f32_e32 v3, v4, v3
	v_div_scale_f32 v4, vcc_lo, v0, s2, v0
	v_mul_f32_e32 v5, v4, v3
	v_fma_f32 v6, -v1, v5, v4
	v_fmac_f32_e32 v5, v6, v3
	v_fma_f32 v1, -v1, v5, v4
	v_div_fmas_f32 v1, v1, v3, v5
	v_div_fixup_f32 v0, v1, s2, v0
	v_mov_b32_e32 v1, s3
	v_max_f32_e32 v3, v0, v0
.LBB8_63:                               ; =>This Inner Loop Header: Depth=1
	v_max_f32_e32 v0, v1, v1
	v_max_f32_e32 v0, v0, v3
	global_atomic_cmpswap v0, v2, v[0:1], s[0:1] glc
	s_waitcnt vmcnt(0)
	v_cmp_eq_u32_e32 vcc_lo, v0, v1
	v_mov_b32_e32 v1, v0
	s_or_b32 s6, vcc_lo, s6
	s_andn2_b32 exec_lo, exec_lo, s6
	s_cbranch_execnz .LBB8_63
.LBB8_64:
	s_endpgm
	.section	.rodata,"a",@progbits
	.p2align	6, 0x0
	.amdhsa_kernel _ZN9rocsparseL19kernel_nrm_residualILi1024ELi2EfiiEEvT3_T2_PKS2_S4_PKS1_PKT1_21rocsparse_index_base_S4_S4_S6_S9_SA_S4_S4_S6_S9_SA_S9_PNS_15floating_traitsIS7_E6data_tEPKSD_
		.amdhsa_group_segment_fixed_size 2048
		.amdhsa_private_segment_fixed_size 0
		.amdhsa_kernarg_size 152
		.amdhsa_user_sgpr_count 6
		.amdhsa_user_sgpr_private_segment_buffer 1
		.amdhsa_user_sgpr_dispatch_ptr 0
		.amdhsa_user_sgpr_queue_ptr 0
		.amdhsa_user_sgpr_kernarg_segment_ptr 1
		.amdhsa_user_sgpr_dispatch_id 0
		.amdhsa_user_sgpr_flat_scratch_init 0
		.amdhsa_user_sgpr_private_segment_size 0
		.amdhsa_wavefront_size32 1
		.amdhsa_uses_dynamic_stack 0
		.amdhsa_system_sgpr_private_segment_wavefront_offset 0
		.amdhsa_system_sgpr_workgroup_id_x 1
		.amdhsa_system_sgpr_workgroup_id_y 0
		.amdhsa_system_sgpr_workgroup_id_z 0
		.amdhsa_system_sgpr_workgroup_info 0
		.amdhsa_system_vgpr_workitem_id 0
		.amdhsa_next_free_vgpr 37
		.amdhsa_next_free_sgpr 48
		.amdhsa_reserve_vcc 1
		.amdhsa_reserve_flat_scratch 0
		.amdhsa_float_round_mode_32 0
		.amdhsa_float_round_mode_16_64 0
		.amdhsa_float_denorm_mode_32 3
		.amdhsa_float_denorm_mode_16_64 3
		.amdhsa_dx10_clamp 1
		.amdhsa_ieee_mode 1
		.amdhsa_fp16_overflow 0
		.amdhsa_workgroup_processor_mode 1
		.amdhsa_memory_ordered 1
		.amdhsa_forward_progress 1
		.amdhsa_shared_vgpr_count 0
		.amdhsa_exception_fp_ieee_invalid_op 0
		.amdhsa_exception_fp_denorm_src 0
		.amdhsa_exception_fp_ieee_div_zero 0
		.amdhsa_exception_fp_ieee_overflow 0
		.amdhsa_exception_fp_ieee_underflow 0
		.amdhsa_exception_fp_ieee_inexact 0
		.amdhsa_exception_int_div_zero 0
	.end_amdhsa_kernel
	.section	.text._ZN9rocsparseL19kernel_nrm_residualILi1024ELi2EfiiEEvT3_T2_PKS2_S4_PKS1_PKT1_21rocsparse_index_base_S4_S4_S6_S9_SA_S4_S4_S6_S9_SA_S9_PNS_15floating_traitsIS7_E6data_tEPKSD_,"axG",@progbits,_ZN9rocsparseL19kernel_nrm_residualILi1024ELi2EfiiEEvT3_T2_PKS2_S4_PKS1_PKT1_21rocsparse_index_base_S4_S4_S6_S9_SA_S4_S4_S6_S9_SA_S9_PNS_15floating_traitsIS7_E6data_tEPKSD_,comdat
.Lfunc_end8:
	.size	_ZN9rocsparseL19kernel_nrm_residualILi1024ELi2EfiiEEvT3_T2_PKS2_S4_PKS1_PKT1_21rocsparse_index_base_S4_S4_S6_S9_SA_S4_S4_S6_S9_SA_S9_PNS_15floating_traitsIS7_E6data_tEPKSD_, .Lfunc_end8-_ZN9rocsparseL19kernel_nrm_residualILi1024ELi2EfiiEEvT3_T2_PKS2_S4_PKS1_PKT1_21rocsparse_index_base_S4_S4_S6_S9_SA_S4_S4_S6_S9_SA_S9_PNS_15floating_traitsIS7_E6data_tEPKSD_
                                        ; -- End function
	.set _ZN9rocsparseL19kernel_nrm_residualILi1024ELi2EfiiEEvT3_T2_PKS2_S4_PKS1_PKT1_21rocsparse_index_base_S4_S4_S6_S9_SA_S4_S4_S6_S9_SA_S9_PNS_15floating_traitsIS7_E6data_tEPKSD_.num_vgpr, 37
	.set _ZN9rocsparseL19kernel_nrm_residualILi1024ELi2EfiiEEvT3_T2_PKS2_S4_PKS1_PKT1_21rocsparse_index_base_S4_S4_S6_S9_SA_S4_S4_S6_S9_SA_S9_PNS_15floating_traitsIS7_E6data_tEPKSD_.num_agpr, 0
	.set _ZN9rocsparseL19kernel_nrm_residualILi1024ELi2EfiiEEvT3_T2_PKS2_S4_PKS1_PKT1_21rocsparse_index_base_S4_S4_S6_S9_SA_S4_S4_S6_S9_SA_S9_PNS_15floating_traitsIS7_E6data_tEPKSD_.numbered_sgpr, 48
	.set _ZN9rocsparseL19kernel_nrm_residualILi1024ELi2EfiiEEvT3_T2_PKS2_S4_PKS1_PKT1_21rocsparse_index_base_S4_S4_S6_S9_SA_S4_S4_S6_S9_SA_S9_PNS_15floating_traitsIS7_E6data_tEPKSD_.num_named_barrier, 0
	.set _ZN9rocsparseL19kernel_nrm_residualILi1024ELi2EfiiEEvT3_T2_PKS2_S4_PKS1_PKT1_21rocsparse_index_base_S4_S4_S6_S9_SA_S4_S4_S6_S9_SA_S9_PNS_15floating_traitsIS7_E6data_tEPKSD_.private_seg_size, 0
	.set _ZN9rocsparseL19kernel_nrm_residualILi1024ELi2EfiiEEvT3_T2_PKS2_S4_PKS1_PKT1_21rocsparse_index_base_S4_S4_S6_S9_SA_S4_S4_S6_S9_SA_S9_PNS_15floating_traitsIS7_E6data_tEPKSD_.uses_vcc, 1
	.set _ZN9rocsparseL19kernel_nrm_residualILi1024ELi2EfiiEEvT3_T2_PKS2_S4_PKS1_PKT1_21rocsparse_index_base_S4_S4_S6_S9_SA_S4_S4_S6_S9_SA_S9_PNS_15floating_traitsIS7_E6data_tEPKSD_.uses_flat_scratch, 0
	.set _ZN9rocsparseL19kernel_nrm_residualILi1024ELi2EfiiEEvT3_T2_PKS2_S4_PKS1_PKT1_21rocsparse_index_base_S4_S4_S6_S9_SA_S4_S4_S6_S9_SA_S9_PNS_15floating_traitsIS7_E6data_tEPKSD_.has_dyn_sized_stack, 0
	.set _ZN9rocsparseL19kernel_nrm_residualILi1024ELi2EfiiEEvT3_T2_PKS2_S4_PKS1_PKT1_21rocsparse_index_base_S4_S4_S6_S9_SA_S4_S4_S6_S9_SA_S9_PNS_15floating_traitsIS7_E6data_tEPKSD_.has_recursion, 0
	.set _ZN9rocsparseL19kernel_nrm_residualILi1024ELi2EfiiEEvT3_T2_PKS2_S4_PKS1_PKT1_21rocsparse_index_base_S4_S4_S6_S9_SA_S4_S4_S6_S9_SA_S9_PNS_15floating_traitsIS7_E6data_tEPKSD_.has_indirect_call, 0
	.section	.AMDGPU.csdata,"",@progbits
; Kernel info:
; codeLenInByte = 2456
; TotalNumSgprs: 50
; NumVgprs: 37
; ScratchSize: 0
; MemoryBound: 0
; FloatMode: 240
; IeeeMode: 1
; LDSByteSize: 2048 bytes/workgroup (compile time only)
; SGPRBlocks: 0
; VGPRBlocks: 4
; NumSGPRsForWavesPerEU: 50
; NumVGPRsForWavesPerEU: 37
; Occupancy: 16
; WaveLimiterHint : 1
; COMPUTE_PGM_RSRC2:SCRATCH_EN: 0
; COMPUTE_PGM_RSRC2:USER_SGPR: 6
; COMPUTE_PGM_RSRC2:TRAP_HANDLER: 0
; COMPUTE_PGM_RSRC2:TGID_X_EN: 1
; COMPUTE_PGM_RSRC2:TGID_Y_EN: 0
; COMPUTE_PGM_RSRC2:TGID_Z_EN: 0
; COMPUTE_PGM_RSRC2:TIDIG_COMP_CNT: 0
	.section	.text._ZN9rocsparseL19kernel_nrm_residualILi1024ELi4EfiiEEvT3_T2_PKS2_S4_PKS1_PKT1_21rocsparse_index_base_S4_S4_S6_S9_SA_S4_S4_S6_S9_SA_S9_PNS_15floating_traitsIS7_E6data_tEPKSD_,"axG",@progbits,_ZN9rocsparseL19kernel_nrm_residualILi1024ELi4EfiiEEvT3_T2_PKS2_S4_PKS1_PKT1_21rocsparse_index_base_S4_S4_S6_S9_SA_S4_S4_S6_S9_SA_S9_PNS_15floating_traitsIS7_E6data_tEPKSD_,comdat
	.globl	_ZN9rocsparseL19kernel_nrm_residualILi1024ELi4EfiiEEvT3_T2_PKS2_S4_PKS1_PKT1_21rocsparse_index_base_S4_S4_S6_S9_SA_S4_S4_S6_S9_SA_S9_PNS_15floating_traitsIS7_E6data_tEPKSD_ ; -- Begin function _ZN9rocsparseL19kernel_nrm_residualILi1024ELi4EfiiEEvT3_T2_PKS2_S4_PKS1_PKT1_21rocsparse_index_base_S4_S4_S6_S9_SA_S4_S4_S6_S9_SA_S9_PNS_15floating_traitsIS7_E6data_tEPKSD_
	.p2align	8
	.type	_ZN9rocsparseL19kernel_nrm_residualILi1024ELi4EfiiEEvT3_T2_PKS2_S4_PKS1_PKT1_21rocsparse_index_base_S4_S4_S6_S9_SA_S4_S4_S6_S9_SA_S9_PNS_15floating_traitsIS7_E6data_tEPKSD_,@function
_ZN9rocsparseL19kernel_nrm_residualILi1024ELi4EfiiEEvT3_T2_PKS2_S4_PKS1_PKT1_21rocsparse_index_base_S4_S4_S6_S9_SA_S4_S4_S6_S9_SA_S9_PNS_15floating_traitsIS7_E6data_tEPKSD_: ; @_ZN9rocsparseL19kernel_nrm_residualILi1024ELi4EfiiEEvT3_T2_PKS2_S4_PKS1_PKT1_21rocsparse_index_base_S4_S4_S6_S9_SA_S4_S4_S6_S9_SA_S9_PNS_15floating_traitsIS7_E6data_tEPKSD_
; %bb.0:
	s_load_dword s7, s[4:5], 0x0
	v_lshrrev_b32_e32 v18, 2, v0
	s_lshl_b32 s34, s6, 10
	v_and_b32_e32 v19, 3, v0
	v_mov_b32_e32 v20, 0
	s_mov_b32 s6, exec_lo
	v_or_b32_e32 v1, s34, v18
	s_waitcnt lgkmcnt(0)
	v_cmpx_gt_i32_e64 s7, v1
	s_cbranch_execz .LBB9_40
; %bb.1:
	v_mov_b32_e32 v20, 0
	s_addk_i32 s34, 0x400
	s_mov_b32 s33, exec_lo
	v_cmpx_gt_u32_e64 s34, v1
	s_cbranch_execz .LBB9_39
; %bb.2:
	s_clause 0x6
	s_load_dword s35, s[4:5], 0x28
	s_load_dwordx8 s[8:15], s[4:5], 0x58
	s_load_dwordx8 s[16:23], s[4:5], 0x30
	;; [unrolled: 1-line block ×3, first 2 shown]
	s_load_dword s36, s[4:5], 0x50
	s_load_dwordx2 s[2:3], s[4:5], 0x80
	s_load_dword s37, s[4:5], 0x78
	v_mov_b32_e32 v3, 0
	v_mov_b32_e32 v20, 0
	s_mov_b32 s38, 0
	s_waitcnt lgkmcnt(0)
	v_subrev_nc_u32_e32 v21, s35, v19
	s_branch .LBB9_6
.LBB9_3:                                ;   in Loop: Header=BB9_6 Depth=1
	s_or_b32 exec_lo, exec_lo, s41
.LBB9_4:                                ;   in Loop: Header=BB9_6 Depth=1
	s_or_b32 exec_lo, exec_lo, s40
.LBB9_5:                                ;   in Loop: Header=BB9_6 Depth=1
	s_or_b32 exec_lo, exec_lo, s39
	v_add_nc_u32_e32 v1, 0x100, v1
	v_cmp_le_u32_e32 vcc_lo, s34, v1
	s_or_b32 s38, vcc_lo, s38
	s_andn2_b32 exec_lo, exec_lo, s38
	s_cbranch_execz .LBB9_38
.LBB9_6:                                ; =>This Loop Header: Depth=1
                                        ;     Child Loop BB9_10 Depth 2
                                        ;       Child Loop BB9_14 Depth 3
                                        ;       Child Loop BB9_24 Depth 3
	;; [unrolled: 1-line block ×3, first 2 shown]
	s_mov_b32 s39, exec_lo
	v_cmpx_gt_i32_e64 s7, v1
	s_cbranch_execz .LBB9_5
; %bb.7:                                ;   in Loop: Header=BB9_6 Depth=1
	v_ashrrev_i32_e32 v2, 31, v1
	s_mov_b32 s40, exec_lo
	v_lshlrev_b64 v[5:6], 2, v[1:2]
	v_add_co_u32 v7, vcc_lo, s24, v5
	v_add_co_ci_u32_e64 v8, null, s25, v6, vcc_lo
	v_add_co_u32 v9, vcc_lo, s26, v5
	v_add_co_ci_u32_e64 v10, null, s27, v6, vcc_lo
	global_load_dword v2, v[7:8], off
	global_load_dword v7, v[9:10], off
	s_waitcnt vmcnt(1)
	v_add_nc_u32_e32 v4, v21, v2
	s_waitcnt vmcnt(0)
	v_subrev_nc_u32_e32 v22, s35, v7
	v_cmpx_lt_i32_e64 v4, v22
	s_cbranch_execz .LBB9_4
; %bb.8:                                ;   in Loop: Header=BB9_6 Depth=1
	v_add_co_u32 v7, vcc_lo, s16, v5
	v_add_co_ci_u32_e64 v8, null, s17, v6, vcc_lo
	v_add_co_u32 v5, vcc_lo, s18, v5
	v_add_co_ci_u32_e64 v6, null, s19, v6, vcc_lo
	global_load_dword v2, v[7:8], off
	s_mov_b32 s41, 0
	global_load_dword v5, v[5:6], off
	s_waitcnt vmcnt(1)
	v_subrev_nc_u32_e32 v6, s36, v2
	s_waitcnt vmcnt(0)
	v_sub_nc_u32_e32 v23, v5, v2
	v_ashrrev_i32_e32 v7, 31, v6
	v_lshlrev_b64 v[7:8], 2, v[6:7]
	v_add_co_u32 v24, vcc_lo, s20, v7
	v_add_co_ci_u32_e64 v25, null, s21, v8, vcc_lo
	v_add_co_u32 v26, vcc_lo, s22, v7
	v_add_co_ci_u32_e64 v27, null, s23, v8, vcc_lo
	v_cmp_lt_i32_e32 vcc_lo, 0, v23
	s_branch .LBB9_10
.LBB9_9:                                ;   in Loop: Header=BB9_10 Depth=2
	s_or_b32 exec_lo, exec_lo, s1
	v_add_co_u32 v7, s0, s30, v7
	v_add_co_ci_u32_e64 v8, null, s31, v8, s0
	v_add_nc_u32_e32 v4, 4, v4
	global_load_dword v2, v[7:8], off
	v_cmp_ge_i32_e64 s0, v4, v22
	s_waitcnt vmcnt(0)
	v_sub_f32_e32 v2, v2, v5
	v_cmp_nlg_f32_e64 s1, 0x7f800000, |v2|
	v_cmp_gt_f32_e64 s42, v20, |v2|
	s_or_b32 s1, s1, s42
	s_or_b32 s41, s0, s41
	v_cndmask_b32_e64 v20, |v2|, v20, s1
	s_andn2_b32 exec_lo, exec_lo, s41
	s_cbranch_execz .LBB9_3
.LBB9_10:                               ;   Parent Loop BB9_6 Depth=1
                                        ; =>  This Loop Header: Depth=2
                                        ;       Child Loop BB9_14 Depth 3
                                        ;       Child Loop BB9_24 Depth 3
	;; [unrolled: 1-line block ×3, first 2 shown]
	v_ashrrev_i32_e32 v5, 31, v4
	v_lshlrev_b64 v[7:8], 2, v[4:5]
	v_mov_b32_e32 v5, 0
	v_add_co_u32 v9, s0, s28, v7
	v_add_co_ci_u32_e64 v10, null, s29, v8, s0
	global_load_dword v2, v[9:10], off
	s_waitcnt vmcnt(0)
	v_subrev_nc_u32_e32 v11, s35, v2
	v_ashrrev_i32_e32 v12, 31, v11
	v_lshlrev_b64 v[9:10], 2, v[11:12]
	v_add_co_u32 v12, s0, s8, v9
	v_add_co_ci_u32_e64 v13, null, s9, v10, s0
	v_add_co_u32 v14, s0, s10, v9
	v_add_co_ci_u32_e64 v15, null, s11, v10, s0
	global_load_dword v2, v[12:13], off
	global_load_dword v14, v[14:15], off
	v_mov_b32_e32 v13, 0
	s_waitcnt vmcnt(1)
	v_subrev_nc_u32_e32 v12, s37, v2
	s_waitcnt vmcnt(0)
	v_sub_nc_u32_e32 v28, v14, v2
	v_mov_b32_e32 v2, v13
	s_and_saveexec_b32 s42, vcc_lo
	s_cbranch_execz .LBB9_18
; %bb.11:                               ;   in Loop: Header=BB9_10 Depth=2
	v_ashrrev_i32_e32 v13, 31, v12
	v_mov_b32_e32 v5, 0
	v_mov_b32_e32 v2, 0
	s_mov_b32 s43, 0
                                        ; implicit-def: $sgpr44
	v_lshlrev_b64 v[13:14], 2, v[12:13]
	v_add_co_u32 v29, s0, s12, v13
	v_add_co_ci_u32_e64 v30, null, s13, v14, s0
	v_add_co_u32 v31, s0, s14, v13
	v_add_co_ci_u32_e64 v32, null, s15, v14, s0
	v_mov_b32_e32 v13, 0
	s_branch .LBB9_14
.LBB9_12:                               ;   in Loop: Header=BB9_14 Depth=3
	s_or_b32 exec_lo, exec_lo, s1
	v_cmp_le_i32_e64 s0, v33, v34
	v_cmp_ge_i32_e64 s1, v33, v34
	v_add_co_ci_u32_e64 v2, null, 0, v2, s0
	v_add_co_ci_u32_e64 v13, null, 0, v13, s1
	s_andn2_b32 s1, s44, exec_lo
	v_cmp_ge_i32_e64 s0, v2, v23
	s_and_b32 s0, s0, exec_lo
	s_or_b32 s44, s1, s0
.LBB9_13:                               ;   in Loop: Header=BB9_14 Depth=3
	s_or_b32 exec_lo, exec_lo, s45
	s_and_b32 s0, exec_lo, s44
	s_or_b32 s43, s0, s43
	s_andn2_b32 exec_lo, exec_lo, s43
	s_cbranch_execz .LBB9_17
.LBB9_14:                               ;   Parent Loop BB9_6 Depth=1
                                        ;     Parent Loop BB9_10 Depth=2
                                        ; =>    This Inner Loop Header: Depth=3
	s_or_b32 s44, s44, exec_lo
	s_mov_b32 s45, exec_lo
	v_cmpx_lt_i32_e64 v13, v28
	s_cbranch_execz .LBB9_13
; %bb.15:                               ;   in Loop: Header=BB9_14 Depth=3
	v_mov_b32_e32 v14, v3
	v_lshlrev_b64 v[16:17], 2, v[2:3]
	s_mov_b32 s1, exec_lo
	v_lshlrev_b64 v[14:15], 2, v[13:14]
	v_add_co_u32 v33, s0, v24, v16
	v_add_co_ci_u32_e64 v34, null, v25, v17, s0
	v_add_co_u32 v35, s0, v29, v14
	v_add_co_ci_u32_e64 v36, null, v30, v15, s0
	global_load_dword v33, v[33:34], off
	global_load_dword v34, v[35:36], off
	s_waitcnt vmcnt(1)
	v_subrev_nc_u32_e32 v33, s36, v33
	s_waitcnt vmcnt(0)
	v_subrev_nc_u32_e32 v34, s37, v34
	v_cmpx_eq_u32_e64 v33, v34
	s_cbranch_execz .LBB9_12
; %bb.16:                               ;   in Loop: Header=BB9_14 Depth=3
	v_add_co_u32 v16, s0, v26, v16
	v_add_co_ci_u32_e64 v17, null, v27, v17, s0
	v_add_co_u32 v14, s0, v31, v14
	v_add_co_ci_u32_e64 v15, null, v32, v15, s0
	global_load_dword v16, v[16:17], off
	global_load_dword v14, v[14:15], off
	s_waitcnt vmcnt(0)
	v_fmac_f32_e32 v5, v16, v14
	s_branch .LBB9_12
.LBB9_17:                               ;   in Loop: Header=BB9_10 Depth=2
	s_or_b32 exec_lo, exec_lo, s43
.LBB9_18:                               ;   in Loop: Header=BB9_10 Depth=2
	s_or_b32 exec_lo, exec_lo, s42
	s_mov_b32 s1, exec_lo
	v_cmpx_ge_i32_e64 v13, v28
	s_xor_b32 s1, exec_lo, s1
	s_cbranch_execnz .LBB9_21
; %bb.19:                               ;   in Loop: Header=BB9_10 Depth=2
	s_andn2_saveexec_b32 s1, s1
	s_cbranch_execnz .LBB9_30
.LBB9_20:                               ;   in Loop: Header=BB9_10 Depth=2
	s_or_b32 exec_lo, exec_lo, s1
	s_mov_b32 s1, exec_lo
	v_cmpx_eq_u32_e64 v1, v11
	s_cbranch_execz .LBB9_9
	s_branch .LBB9_37
.LBB9_21:                               ;   in Loop: Header=BB9_10 Depth=2
	s_mov_b32 s42, exec_lo
	v_cmpx_lt_i32_e64 v2, v23
	s_cbranch_execz .LBB9_29
; %bb.22:                               ;   in Loop: Header=BB9_10 Depth=2
	s_mov_b32 s43, 0
                                        ; implicit-def: $sgpr44
                                        ; implicit-def: $sgpr46
                                        ; implicit-def: $sgpr45
	s_inst_prefetch 0x1
	s_branch .LBB9_24
	.p2align	6
.LBB9_23:                               ;   in Loop: Header=BB9_24 Depth=3
	s_or_b32 exec_lo, exec_lo, s47
	s_and_b32 s0, exec_lo, s46
	s_or_b32 s43, s0, s43
	s_andn2_b32 s0, s44, exec_lo
	s_and_b32 s44, s45, exec_lo
	s_or_b32 s44, s0, s44
	s_andn2_b32 exec_lo, exec_lo, s43
	s_cbranch_execz .LBB9_26
.LBB9_24:                               ;   Parent Loop BB9_6 Depth=1
                                        ;     Parent Loop BB9_10 Depth=2
                                        ; =>    This Inner Loop Header: Depth=3
	v_add_nc_u32_e32 v12, v6, v2
	s_or_b32 s45, s45, exec_lo
	s_or_b32 s46, s46, exec_lo
	s_mov_b32 s47, exec_lo
	v_ashrrev_i32_e32 v13, 31, v12
	v_lshlrev_b64 v[12:13], 2, v[12:13]
	v_add_co_u32 v14, s0, s20, v12
	v_add_co_ci_u32_e64 v15, null, s21, v13, s0
	global_load_dword v14, v[14:15], off
	s_waitcnt vmcnt(0)
	v_subrev_nc_u32_e32 v14, s36, v14
	v_cmpx_ne_u32_e64 v14, v11
	s_cbranch_execz .LBB9_23
; %bb.25:                               ;   in Loop: Header=BB9_24 Depth=3
	v_add_nc_u32_e32 v2, 1, v2
	s_andn2_b32 s46, s46, exec_lo
	s_andn2_b32 s45, s45, exec_lo
	v_cmp_ge_i32_e64 s0, v2, v23
	s_and_b32 s0, s0, exec_lo
	s_or_b32 s46, s46, s0
	s_branch .LBB9_23
.LBB9_26:                               ;   in Loop: Header=BB9_10 Depth=2
	s_inst_prefetch 0x2
	s_or_b32 exec_lo, exec_lo, s43
	s_and_saveexec_b32 s0, s44
	s_xor_b32 s43, exec_lo, s0
	s_cbranch_execz .LBB9_28
; %bb.27:                               ;   in Loop: Header=BB9_10 Depth=2
	v_add_co_u32 v12, s0, s22, v12
	v_add_co_ci_u32_e64 v13, null, s23, v13, s0
	v_add_co_u32 v14, s0, s2, v9
	v_add_co_ci_u32_e64 v15, null, s3, v10, s0
	global_load_dword v2, v[12:13], off
	global_load_dword v12, v[14:15], off
	s_waitcnt vmcnt(0)
	v_fmac_f32_e32 v5, v2, v12
.LBB9_28:                               ;   in Loop: Header=BB9_10 Depth=2
	s_or_b32 exec_lo, exec_lo, s43
.LBB9_29:                               ;   in Loop: Header=BB9_10 Depth=2
	s_or_b32 exec_lo, exec_lo, s42
                                        ; implicit-def: $vgpr13
                                        ; implicit-def: $vgpr12
                                        ; implicit-def: $vgpr28
	s_andn2_saveexec_b32 s1, s1
	s_cbranch_execz .LBB9_20
.LBB9_30:                               ;   in Loop: Header=BB9_10 Depth=2
	s_mov_b32 s42, 0
                                        ; implicit-def: $sgpr43
                                        ; implicit-def: $sgpr45
                                        ; implicit-def: $sgpr44
	s_inst_prefetch 0x1
	s_branch .LBB9_32
	.p2align	6
.LBB9_31:                               ;   in Loop: Header=BB9_32 Depth=3
	s_or_b32 exec_lo, exec_lo, s46
	s_and_b32 s0, exec_lo, s45
	s_or_b32 s42, s0, s42
	s_andn2_b32 s0, s43, exec_lo
	s_and_b32 s43, s44, exec_lo
	s_or_b32 s43, s0, s43
	s_andn2_b32 exec_lo, exec_lo, s42
	s_cbranch_execz .LBB9_34
.LBB9_32:                               ;   Parent Loop BB9_6 Depth=1
                                        ;     Parent Loop BB9_10 Depth=2
                                        ; =>    This Inner Loop Header: Depth=3
	v_add_nc_u32_e32 v14, v12, v13
	s_or_b32 s44, s44, exec_lo
	s_or_b32 s45, s45, exec_lo
	s_mov_b32 s46, exec_lo
	v_ashrrev_i32_e32 v15, 31, v14
	v_lshlrev_b64 v[14:15], 2, v[14:15]
	v_add_co_u32 v16, s0, s12, v14
	v_add_co_ci_u32_e64 v17, null, s13, v15, s0
	global_load_dword v2, v[16:17], off
	s_waitcnt vmcnt(0)
	v_subrev_nc_u32_e32 v2, s37, v2
	v_cmpx_ne_u32_e64 v2, v1
	s_cbranch_execz .LBB9_31
; %bb.33:                               ;   in Loop: Header=BB9_32 Depth=3
	v_add_nc_u32_e32 v13, 1, v13
	s_andn2_b32 s45, s45, exec_lo
	s_andn2_b32 s44, s44, exec_lo
	v_cmp_ge_i32_e64 s0, v13, v28
	s_and_b32 s0, s0, exec_lo
	s_or_b32 s45, s45, s0
	s_branch .LBB9_31
.LBB9_34:                               ;   in Loop: Header=BB9_10 Depth=2
	s_inst_prefetch 0x2
	s_or_b32 exec_lo, exec_lo, s42
	s_and_saveexec_b32 s0, s43
	s_xor_b32 s42, exec_lo, s0
	s_cbranch_execz .LBB9_36
; %bb.35:                               ;   in Loop: Header=BB9_10 Depth=2
	v_add_co_u32 v12, s0, s14, v14
	v_add_co_ci_u32_e64 v13, null, s15, v15, s0
	global_load_dword v2, v[12:13], off
	s_waitcnt vmcnt(0)
	v_add_f32_e32 v5, v5, v2
.LBB9_36:                               ;   in Loop: Header=BB9_10 Depth=2
	s_or_b32 exec_lo, exec_lo, s42
	s_or_b32 exec_lo, exec_lo, s1
	s_mov_b32 s1, exec_lo
	v_cmpx_eq_u32_e64 v1, v11
	s_cbranch_execz .LBB9_9
.LBB9_37:                               ;   in Loop: Header=BB9_10 Depth=2
	v_add_co_u32 v9, s0, s2, v9
	v_add_co_ci_u32_e64 v10, null, s3, v10, s0
	global_load_dword v2, v[9:10], off
	s_waitcnt vmcnt(0)
	v_add_f32_e32 v5, v5, v2
	s_branch .LBB9_9
.LBB9_38:
	s_or_b32 exec_lo, exec_lo, s38
.LBB9_39:
	s_or_b32 exec_lo, exec_lo, s33
.LBB9_40:
	s_or_b32 exec_lo, exec_lo, s6
	v_mbcnt_lo_u32_b32 v1, -1, 0
	s_mov_b32 s0, exec_lo
	v_xor_b32_e32 v2, 2, v1
	v_xor_b32_e32 v3, 1, v1
	v_cmp_gt_i32_e32 vcc_lo, 32, v2
	v_cndmask_b32_e32 v2, v1, v2, vcc_lo
	v_cmp_gt_i32_e32 vcc_lo, 32, v3
	v_lshlrev_b32_e32 v2, 2, v2
	v_cndmask_b32_e32 v3, v1, v3, vcc_lo
	ds_bpermute_b32 v2, v2, v20
	s_waitcnt lgkmcnt(0)
	v_cmp_lt_f32_e32 vcc_lo, v20, v2
	v_cndmask_b32_e32 v1, v20, v2, vcc_lo
	v_lshlrev_b32_e32 v2, 2, v3
	ds_bpermute_b32 v2, v2, v1
	v_cmpx_eq_u32_e32 3, v19
	s_cbranch_execz .LBB9_42
; %bb.41:
	s_waitcnt lgkmcnt(0)
	v_cmp_lt_f32_e32 vcc_lo, v1, v2
	v_lshlrev_b32_e32 v3, 2, v18
	v_cndmask_b32_e32 v1, v1, v2, vcc_lo
	ds_write_b32 v3, v1
.LBB9_42:
	s_or_b32 exec_lo, exec_lo, s0
	v_lshlrev_b32_e32 v1, 2, v0
	s_mov_b32 s0, exec_lo
	s_waitcnt lgkmcnt(0)
	s_barrier
	buffer_gl0_inv
	v_cmpx_gt_u32_e32 0x80, v0
	s_cbranch_execz .LBB9_44
; %bb.43:
	ds_read2st64_b32 v[2:3], v1 offset1:2
	s_waitcnt lgkmcnt(0)
	v_cmp_lt_f32_e32 vcc_lo, v2, v3
	v_cndmask_b32_e32 v2, v2, v3, vcc_lo
	ds_write_b32 v1, v2
.LBB9_44:
	s_or_b32 exec_lo, exec_lo, s0
	s_mov_b32 s0, exec_lo
	s_waitcnt lgkmcnt(0)
	s_barrier
	buffer_gl0_inv
	v_cmpx_gt_u32_e32 64, v0
	s_cbranch_execz .LBB9_46
; %bb.45:
	ds_read2st64_b32 v[2:3], v1 offset1:1
	s_waitcnt lgkmcnt(0)
	v_cmp_lt_f32_e32 vcc_lo, v2, v3
	v_cndmask_b32_e32 v2, v2, v3, vcc_lo
	ds_write_b32 v1, v2
.LBB9_46:
	s_or_b32 exec_lo, exec_lo, s0
	s_mov_b32 s0, exec_lo
	s_waitcnt lgkmcnt(0)
	s_barrier
	buffer_gl0_inv
	v_cmpx_gt_u32_e32 32, v0
	s_cbranch_execz .LBB9_48
; %bb.47:
	ds_read2_b32 v[2:3], v1 offset1:32
	s_waitcnt lgkmcnt(0)
	v_cmp_lt_f32_e32 vcc_lo, v2, v3
	v_cndmask_b32_e32 v2, v2, v3, vcc_lo
	ds_write_b32 v1, v2
.LBB9_48:
	s_or_b32 exec_lo, exec_lo, s0
	s_mov_b32 s0, exec_lo
	s_waitcnt lgkmcnt(0)
	s_barrier
	buffer_gl0_inv
	v_cmpx_gt_u32_e32 16, v0
	s_cbranch_execz .LBB9_50
; %bb.49:
	ds_read2_b32 v[2:3], v1 offset1:16
	s_waitcnt lgkmcnt(0)
	v_cmp_lt_f32_e32 vcc_lo, v2, v3
	v_cndmask_b32_e32 v2, v2, v3, vcc_lo
	ds_write_b32 v1, v2
.LBB9_50:
	;; [unrolled: 14-line block ×5, first 2 shown]
	s_or_b32 exec_lo, exec_lo, s0
	v_cmp_eq_u32_e32 vcc_lo, 0, v0
	s_waitcnt lgkmcnt(0)
	s_barrier
	buffer_gl0_inv
	s_and_saveexec_b32 s1, vcc_lo
	s_cbranch_execz .LBB9_58
; %bb.57:
	v_mov_b32_e32 v2, 0
	ds_read_b64 v[0:1], v2
	s_waitcnt lgkmcnt(0)
	v_cmp_lt_f32_e64 s0, v0, v1
	v_cndmask_b32_e64 v0, v0, v1, s0
	ds_write_b32 v2, v0
.LBB9_58:
	s_or_b32 exec_lo, exec_lo, s1
	s_waitcnt lgkmcnt(0)
	s_barrier
	buffer_gl0_inv
	s_and_saveexec_b32 s0, vcc_lo
	s_cbranch_execz .LBB9_62
; %bb.59:
	v_mbcnt_lo_u32_b32 v0, exec_lo, 0
	s_mov_b32 s6, 0
	v_cmp_eq_u32_e32 vcc_lo, 0, v0
	s_and_b32 exec_lo, exec_lo, vcc_lo
	s_cbranch_execz .LBB9_62
; %bb.60:
	s_load_dwordx4 s[0:3], s[4:5], 0x88
	v_mov_b32_e32 v2, 0
	ds_read_b32 v0, v2
	s_waitcnt lgkmcnt(0)
	s_load_dword s2, s[2:3], 0x0
	s_load_dword s3, s[0:1], 0x0
	s_waitcnt lgkmcnt(0)
	v_div_scale_f32 v1, null, s2, s2, v0
	v_rcp_f32_e32 v3, v1
	v_fma_f32 v4, -v1, v3, 1.0
	v_fmac_f32_e32 v3, v4, v3
	v_div_scale_f32 v4, vcc_lo, v0, s2, v0
	v_mul_f32_e32 v5, v4, v3
	v_fma_f32 v6, -v1, v5, v4
	v_fmac_f32_e32 v5, v6, v3
	v_fma_f32 v1, -v1, v5, v4
	v_div_fmas_f32 v1, v1, v3, v5
	v_div_fixup_f32 v0, v1, s2, v0
	v_mov_b32_e32 v1, s3
	v_max_f32_e32 v3, v0, v0
.LBB9_61:                               ; =>This Inner Loop Header: Depth=1
	v_max_f32_e32 v0, v1, v1
	v_max_f32_e32 v0, v0, v3
	global_atomic_cmpswap v0, v2, v[0:1], s[0:1] glc
	s_waitcnt vmcnt(0)
	v_cmp_eq_u32_e32 vcc_lo, v0, v1
	v_mov_b32_e32 v1, v0
	s_or_b32 s6, vcc_lo, s6
	s_andn2_b32 exec_lo, exec_lo, s6
	s_cbranch_execnz .LBB9_61
.LBB9_62:
	s_endpgm
	.section	.rodata,"a",@progbits
	.p2align	6, 0x0
	.amdhsa_kernel _ZN9rocsparseL19kernel_nrm_residualILi1024ELi4EfiiEEvT3_T2_PKS2_S4_PKS1_PKT1_21rocsparse_index_base_S4_S4_S6_S9_SA_S4_S4_S6_S9_SA_S9_PNS_15floating_traitsIS7_E6data_tEPKSD_
		.amdhsa_group_segment_fixed_size 1024
		.amdhsa_private_segment_fixed_size 0
		.amdhsa_kernarg_size 152
		.amdhsa_user_sgpr_count 6
		.amdhsa_user_sgpr_private_segment_buffer 1
		.amdhsa_user_sgpr_dispatch_ptr 0
		.amdhsa_user_sgpr_queue_ptr 0
		.amdhsa_user_sgpr_kernarg_segment_ptr 1
		.amdhsa_user_sgpr_dispatch_id 0
		.amdhsa_user_sgpr_flat_scratch_init 0
		.amdhsa_user_sgpr_private_segment_size 0
		.amdhsa_wavefront_size32 1
		.amdhsa_uses_dynamic_stack 0
		.amdhsa_system_sgpr_private_segment_wavefront_offset 0
		.amdhsa_system_sgpr_workgroup_id_x 1
		.amdhsa_system_sgpr_workgroup_id_y 0
		.amdhsa_system_sgpr_workgroup_id_z 0
		.amdhsa_system_sgpr_workgroup_info 0
		.amdhsa_system_vgpr_workitem_id 0
		.amdhsa_next_free_vgpr 37
		.amdhsa_next_free_sgpr 48
		.amdhsa_reserve_vcc 1
		.amdhsa_reserve_flat_scratch 0
		.amdhsa_float_round_mode_32 0
		.amdhsa_float_round_mode_16_64 0
		.amdhsa_float_denorm_mode_32 3
		.amdhsa_float_denorm_mode_16_64 3
		.amdhsa_dx10_clamp 1
		.amdhsa_ieee_mode 1
		.amdhsa_fp16_overflow 0
		.amdhsa_workgroup_processor_mode 1
		.amdhsa_memory_ordered 1
		.amdhsa_forward_progress 1
		.amdhsa_shared_vgpr_count 0
		.amdhsa_exception_fp_ieee_invalid_op 0
		.amdhsa_exception_fp_denorm_src 0
		.amdhsa_exception_fp_ieee_div_zero 0
		.amdhsa_exception_fp_ieee_overflow 0
		.amdhsa_exception_fp_ieee_underflow 0
		.amdhsa_exception_fp_ieee_inexact 0
		.amdhsa_exception_int_div_zero 0
	.end_amdhsa_kernel
	.section	.text._ZN9rocsparseL19kernel_nrm_residualILi1024ELi4EfiiEEvT3_T2_PKS2_S4_PKS1_PKT1_21rocsparse_index_base_S4_S4_S6_S9_SA_S4_S4_S6_S9_SA_S9_PNS_15floating_traitsIS7_E6data_tEPKSD_,"axG",@progbits,_ZN9rocsparseL19kernel_nrm_residualILi1024ELi4EfiiEEvT3_T2_PKS2_S4_PKS1_PKT1_21rocsparse_index_base_S4_S4_S6_S9_SA_S4_S4_S6_S9_SA_S9_PNS_15floating_traitsIS7_E6data_tEPKSD_,comdat
.Lfunc_end9:
	.size	_ZN9rocsparseL19kernel_nrm_residualILi1024ELi4EfiiEEvT3_T2_PKS2_S4_PKS1_PKT1_21rocsparse_index_base_S4_S4_S6_S9_SA_S4_S4_S6_S9_SA_S9_PNS_15floating_traitsIS7_E6data_tEPKSD_, .Lfunc_end9-_ZN9rocsparseL19kernel_nrm_residualILi1024ELi4EfiiEEvT3_T2_PKS2_S4_PKS1_PKT1_21rocsparse_index_base_S4_S4_S6_S9_SA_S4_S4_S6_S9_SA_S9_PNS_15floating_traitsIS7_E6data_tEPKSD_
                                        ; -- End function
	.set _ZN9rocsparseL19kernel_nrm_residualILi1024ELi4EfiiEEvT3_T2_PKS2_S4_PKS1_PKT1_21rocsparse_index_base_S4_S4_S6_S9_SA_S4_S4_S6_S9_SA_S9_PNS_15floating_traitsIS7_E6data_tEPKSD_.num_vgpr, 37
	.set _ZN9rocsparseL19kernel_nrm_residualILi1024ELi4EfiiEEvT3_T2_PKS2_S4_PKS1_PKT1_21rocsparse_index_base_S4_S4_S6_S9_SA_S4_S4_S6_S9_SA_S9_PNS_15floating_traitsIS7_E6data_tEPKSD_.num_agpr, 0
	.set _ZN9rocsparseL19kernel_nrm_residualILi1024ELi4EfiiEEvT3_T2_PKS2_S4_PKS1_PKT1_21rocsparse_index_base_S4_S4_S6_S9_SA_S4_S4_S6_S9_SA_S9_PNS_15floating_traitsIS7_E6data_tEPKSD_.numbered_sgpr, 48
	.set _ZN9rocsparseL19kernel_nrm_residualILi1024ELi4EfiiEEvT3_T2_PKS2_S4_PKS1_PKT1_21rocsparse_index_base_S4_S4_S6_S9_SA_S4_S4_S6_S9_SA_S9_PNS_15floating_traitsIS7_E6data_tEPKSD_.num_named_barrier, 0
	.set _ZN9rocsparseL19kernel_nrm_residualILi1024ELi4EfiiEEvT3_T2_PKS2_S4_PKS1_PKT1_21rocsparse_index_base_S4_S4_S6_S9_SA_S4_S4_S6_S9_SA_S9_PNS_15floating_traitsIS7_E6data_tEPKSD_.private_seg_size, 0
	.set _ZN9rocsparseL19kernel_nrm_residualILi1024ELi4EfiiEEvT3_T2_PKS2_S4_PKS1_PKT1_21rocsparse_index_base_S4_S4_S6_S9_SA_S4_S4_S6_S9_SA_S9_PNS_15floating_traitsIS7_E6data_tEPKSD_.uses_vcc, 1
	.set _ZN9rocsparseL19kernel_nrm_residualILi1024ELi4EfiiEEvT3_T2_PKS2_S4_PKS1_PKT1_21rocsparse_index_base_S4_S4_S6_S9_SA_S4_S4_S6_S9_SA_S9_PNS_15floating_traitsIS7_E6data_tEPKSD_.uses_flat_scratch, 0
	.set _ZN9rocsparseL19kernel_nrm_residualILi1024ELi4EfiiEEvT3_T2_PKS2_S4_PKS1_PKT1_21rocsparse_index_base_S4_S4_S6_S9_SA_S4_S4_S6_S9_SA_S9_PNS_15floating_traitsIS7_E6data_tEPKSD_.has_dyn_sized_stack, 0
	.set _ZN9rocsparseL19kernel_nrm_residualILi1024ELi4EfiiEEvT3_T2_PKS2_S4_PKS1_PKT1_21rocsparse_index_base_S4_S4_S6_S9_SA_S4_S4_S6_S9_SA_S9_PNS_15floating_traitsIS7_E6data_tEPKSD_.has_recursion, 0
	.set _ZN9rocsparseL19kernel_nrm_residualILi1024ELi4EfiiEEvT3_T2_PKS2_S4_PKS1_PKT1_21rocsparse_index_base_S4_S4_S6_S9_SA_S4_S4_S6_S9_SA_S9_PNS_15floating_traitsIS7_E6data_tEPKSD_.has_indirect_call, 0
	.section	.AMDGPU.csdata,"",@progbits
; Kernel info:
; codeLenInByte = 2428
; TotalNumSgprs: 50
; NumVgprs: 37
; ScratchSize: 0
; MemoryBound: 0
; FloatMode: 240
; IeeeMode: 1
; LDSByteSize: 1024 bytes/workgroup (compile time only)
; SGPRBlocks: 0
; VGPRBlocks: 4
; NumSGPRsForWavesPerEU: 50
; NumVGPRsForWavesPerEU: 37
; Occupancy: 16
; WaveLimiterHint : 1
; COMPUTE_PGM_RSRC2:SCRATCH_EN: 0
; COMPUTE_PGM_RSRC2:USER_SGPR: 6
; COMPUTE_PGM_RSRC2:TRAP_HANDLER: 0
; COMPUTE_PGM_RSRC2:TGID_X_EN: 1
; COMPUTE_PGM_RSRC2:TGID_Y_EN: 0
; COMPUTE_PGM_RSRC2:TGID_Z_EN: 0
; COMPUTE_PGM_RSRC2:TIDIG_COMP_CNT: 0
	.section	.text._ZN9rocsparseL19kernel_nrm_residualILi1024ELi8EfiiEEvT3_T2_PKS2_S4_PKS1_PKT1_21rocsparse_index_base_S4_S4_S6_S9_SA_S4_S4_S6_S9_SA_S9_PNS_15floating_traitsIS7_E6data_tEPKSD_,"axG",@progbits,_ZN9rocsparseL19kernel_nrm_residualILi1024ELi8EfiiEEvT3_T2_PKS2_S4_PKS1_PKT1_21rocsparse_index_base_S4_S4_S6_S9_SA_S4_S4_S6_S9_SA_S9_PNS_15floating_traitsIS7_E6data_tEPKSD_,comdat
	.globl	_ZN9rocsparseL19kernel_nrm_residualILi1024ELi8EfiiEEvT3_T2_PKS2_S4_PKS1_PKT1_21rocsparse_index_base_S4_S4_S6_S9_SA_S4_S4_S6_S9_SA_S9_PNS_15floating_traitsIS7_E6data_tEPKSD_ ; -- Begin function _ZN9rocsparseL19kernel_nrm_residualILi1024ELi8EfiiEEvT3_T2_PKS2_S4_PKS1_PKT1_21rocsparse_index_base_S4_S4_S6_S9_SA_S4_S4_S6_S9_SA_S9_PNS_15floating_traitsIS7_E6data_tEPKSD_
	.p2align	8
	.type	_ZN9rocsparseL19kernel_nrm_residualILi1024ELi8EfiiEEvT3_T2_PKS2_S4_PKS1_PKT1_21rocsparse_index_base_S4_S4_S6_S9_SA_S4_S4_S6_S9_SA_S9_PNS_15floating_traitsIS7_E6data_tEPKSD_,@function
_ZN9rocsparseL19kernel_nrm_residualILi1024ELi8EfiiEEvT3_T2_PKS2_S4_PKS1_PKT1_21rocsparse_index_base_S4_S4_S6_S9_SA_S4_S4_S6_S9_SA_S9_PNS_15floating_traitsIS7_E6data_tEPKSD_: ; @_ZN9rocsparseL19kernel_nrm_residualILi1024ELi8EfiiEEvT3_T2_PKS2_S4_PKS1_PKT1_21rocsparse_index_base_S4_S4_S6_S9_SA_S4_S4_S6_S9_SA_S9_PNS_15floating_traitsIS7_E6data_tEPKSD_
; %bb.0:
	s_load_dword s7, s[4:5], 0x0
	v_lshrrev_b32_e32 v18, 3, v0
	s_lshl_b32 s34, s6, 10
	v_and_b32_e32 v19, 7, v0
	v_mov_b32_e32 v20, 0
	s_mov_b32 s6, exec_lo
	v_or_b32_e32 v1, s34, v18
	s_waitcnt lgkmcnt(0)
	v_cmpx_gt_i32_e64 s7, v1
	s_cbranch_execz .LBB10_40
; %bb.1:
	v_mov_b32_e32 v20, 0
	s_addk_i32 s34, 0x400
	s_mov_b32 s33, exec_lo
	v_cmpx_gt_u32_e64 s34, v1
	s_cbranch_execz .LBB10_39
; %bb.2:
	s_clause 0x6
	s_load_dword s35, s[4:5], 0x28
	s_load_dwordx8 s[8:15], s[4:5], 0x58
	s_load_dwordx8 s[16:23], s[4:5], 0x30
	;; [unrolled: 1-line block ×3, first 2 shown]
	s_load_dword s36, s[4:5], 0x50
	s_load_dwordx2 s[2:3], s[4:5], 0x80
	s_load_dword s37, s[4:5], 0x78
	v_mov_b32_e32 v3, 0
	v_mov_b32_e32 v20, 0
	s_mov_b32 s38, 0
	s_waitcnt lgkmcnt(0)
	v_subrev_nc_u32_e32 v21, s35, v19
	s_branch .LBB10_6
.LBB10_3:                               ;   in Loop: Header=BB10_6 Depth=1
	s_or_b32 exec_lo, exec_lo, s41
.LBB10_4:                               ;   in Loop: Header=BB10_6 Depth=1
	s_or_b32 exec_lo, exec_lo, s40
.LBB10_5:                               ;   in Loop: Header=BB10_6 Depth=1
	s_or_b32 exec_lo, exec_lo, s39
	v_add_nc_u32_e32 v1, 0x80, v1
	v_cmp_le_u32_e32 vcc_lo, s34, v1
	s_or_b32 s38, vcc_lo, s38
	s_andn2_b32 exec_lo, exec_lo, s38
	s_cbranch_execz .LBB10_38
.LBB10_6:                               ; =>This Loop Header: Depth=1
                                        ;     Child Loop BB10_10 Depth 2
                                        ;       Child Loop BB10_14 Depth 3
                                        ;       Child Loop BB10_24 Depth 3
                                        ;       Child Loop BB10_32 Depth 3
	s_mov_b32 s39, exec_lo
	v_cmpx_gt_i32_e64 s7, v1
	s_cbranch_execz .LBB10_5
; %bb.7:                                ;   in Loop: Header=BB10_6 Depth=1
	v_ashrrev_i32_e32 v2, 31, v1
	s_mov_b32 s40, exec_lo
	v_lshlrev_b64 v[5:6], 2, v[1:2]
	v_add_co_u32 v7, vcc_lo, s24, v5
	v_add_co_ci_u32_e64 v8, null, s25, v6, vcc_lo
	v_add_co_u32 v9, vcc_lo, s26, v5
	v_add_co_ci_u32_e64 v10, null, s27, v6, vcc_lo
	global_load_dword v2, v[7:8], off
	global_load_dword v7, v[9:10], off
	s_waitcnt vmcnt(1)
	v_add_nc_u32_e32 v4, v21, v2
	s_waitcnt vmcnt(0)
	v_subrev_nc_u32_e32 v22, s35, v7
	v_cmpx_lt_i32_e64 v4, v22
	s_cbranch_execz .LBB10_4
; %bb.8:                                ;   in Loop: Header=BB10_6 Depth=1
	v_add_co_u32 v7, vcc_lo, s16, v5
	v_add_co_ci_u32_e64 v8, null, s17, v6, vcc_lo
	v_add_co_u32 v5, vcc_lo, s18, v5
	v_add_co_ci_u32_e64 v6, null, s19, v6, vcc_lo
	global_load_dword v2, v[7:8], off
	s_mov_b32 s41, 0
	global_load_dword v5, v[5:6], off
	s_waitcnt vmcnt(1)
	v_subrev_nc_u32_e32 v6, s36, v2
	s_waitcnt vmcnt(0)
	v_sub_nc_u32_e32 v23, v5, v2
	v_ashrrev_i32_e32 v7, 31, v6
	v_lshlrev_b64 v[7:8], 2, v[6:7]
	v_add_co_u32 v24, vcc_lo, s20, v7
	v_add_co_ci_u32_e64 v25, null, s21, v8, vcc_lo
	v_add_co_u32 v26, vcc_lo, s22, v7
	v_add_co_ci_u32_e64 v27, null, s23, v8, vcc_lo
	v_cmp_lt_i32_e32 vcc_lo, 0, v23
	s_branch .LBB10_10
.LBB10_9:                               ;   in Loop: Header=BB10_10 Depth=2
	s_or_b32 exec_lo, exec_lo, s1
	v_add_co_u32 v7, s0, s30, v7
	v_add_co_ci_u32_e64 v8, null, s31, v8, s0
	v_add_nc_u32_e32 v4, 8, v4
	global_load_dword v2, v[7:8], off
	v_cmp_ge_i32_e64 s0, v4, v22
	s_waitcnt vmcnt(0)
	v_sub_f32_e32 v2, v2, v5
	v_cmp_nlg_f32_e64 s1, 0x7f800000, |v2|
	v_cmp_gt_f32_e64 s42, v20, |v2|
	s_or_b32 s1, s1, s42
	s_or_b32 s41, s0, s41
	v_cndmask_b32_e64 v20, |v2|, v20, s1
	s_andn2_b32 exec_lo, exec_lo, s41
	s_cbranch_execz .LBB10_3
.LBB10_10:                              ;   Parent Loop BB10_6 Depth=1
                                        ; =>  This Loop Header: Depth=2
                                        ;       Child Loop BB10_14 Depth 3
                                        ;       Child Loop BB10_24 Depth 3
	;; [unrolled: 1-line block ×3, first 2 shown]
	v_ashrrev_i32_e32 v5, 31, v4
	v_lshlrev_b64 v[7:8], 2, v[4:5]
	v_mov_b32_e32 v5, 0
	v_add_co_u32 v9, s0, s28, v7
	v_add_co_ci_u32_e64 v10, null, s29, v8, s0
	global_load_dword v2, v[9:10], off
	s_waitcnt vmcnt(0)
	v_subrev_nc_u32_e32 v11, s35, v2
	v_ashrrev_i32_e32 v12, 31, v11
	v_lshlrev_b64 v[9:10], 2, v[11:12]
	v_add_co_u32 v12, s0, s8, v9
	v_add_co_ci_u32_e64 v13, null, s9, v10, s0
	v_add_co_u32 v14, s0, s10, v9
	v_add_co_ci_u32_e64 v15, null, s11, v10, s0
	global_load_dword v2, v[12:13], off
	global_load_dword v14, v[14:15], off
	v_mov_b32_e32 v13, 0
	s_waitcnt vmcnt(1)
	v_subrev_nc_u32_e32 v12, s37, v2
	s_waitcnt vmcnt(0)
	v_sub_nc_u32_e32 v28, v14, v2
	v_mov_b32_e32 v2, v13
	s_and_saveexec_b32 s42, vcc_lo
	s_cbranch_execz .LBB10_18
; %bb.11:                               ;   in Loop: Header=BB10_10 Depth=2
	v_ashrrev_i32_e32 v13, 31, v12
	v_mov_b32_e32 v5, 0
	v_mov_b32_e32 v2, 0
	s_mov_b32 s43, 0
                                        ; implicit-def: $sgpr44
	v_lshlrev_b64 v[13:14], 2, v[12:13]
	v_add_co_u32 v29, s0, s12, v13
	v_add_co_ci_u32_e64 v30, null, s13, v14, s0
	v_add_co_u32 v31, s0, s14, v13
	v_add_co_ci_u32_e64 v32, null, s15, v14, s0
	v_mov_b32_e32 v13, 0
	s_branch .LBB10_14
.LBB10_12:                              ;   in Loop: Header=BB10_14 Depth=3
	s_or_b32 exec_lo, exec_lo, s1
	v_cmp_le_i32_e64 s0, v33, v34
	v_cmp_ge_i32_e64 s1, v33, v34
	v_add_co_ci_u32_e64 v2, null, 0, v2, s0
	v_add_co_ci_u32_e64 v13, null, 0, v13, s1
	s_andn2_b32 s1, s44, exec_lo
	v_cmp_ge_i32_e64 s0, v2, v23
	s_and_b32 s0, s0, exec_lo
	s_or_b32 s44, s1, s0
.LBB10_13:                              ;   in Loop: Header=BB10_14 Depth=3
	s_or_b32 exec_lo, exec_lo, s45
	s_and_b32 s0, exec_lo, s44
	s_or_b32 s43, s0, s43
	s_andn2_b32 exec_lo, exec_lo, s43
	s_cbranch_execz .LBB10_17
.LBB10_14:                              ;   Parent Loop BB10_6 Depth=1
                                        ;     Parent Loop BB10_10 Depth=2
                                        ; =>    This Inner Loop Header: Depth=3
	s_or_b32 s44, s44, exec_lo
	s_mov_b32 s45, exec_lo
	v_cmpx_lt_i32_e64 v13, v28
	s_cbranch_execz .LBB10_13
; %bb.15:                               ;   in Loop: Header=BB10_14 Depth=3
	v_mov_b32_e32 v14, v3
	v_lshlrev_b64 v[16:17], 2, v[2:3]
	s_mov_b32 s1, exec_lo
	v_lshlrev_b64 v[14:15], 2, v[13:14]
	v_add_co_u32 v33, s0, v24, v16
	v_add_co_ci_u32_e64 v34, null, v25, v17, s0
	v_add_co_u32 v35, s0, v29, v14
	v_add_co_ci_u32_e64 v36, null, v30, v15, s0
	global_load_dword v33, v[33:34], off
	global_load_dword v34, v[35:36], off
	s_waitcnt vmcnt(1)
	v_subrev_nc_u32_e32 v33, s36, v33
	s_waitcnt vmcnt(0)
	v_subrev_nc_u32_e32 v34, s37, v34
	v_cmpx_eq_u32_e64 v33, v34
	s_cbranch_execz .LBB10_12
; %bb.16:                               ;   in Loop: Header=BB10_14 Depth=3
	v_add_co_u32 v16, s0, v26, v16
	v_add_co_ci_u32_e64 v17, null, v27, v17, s0
	v_add_co_u32 v14, s0, v31, v14
	v_add_co_ci_u32_e64 v15, null, v32, v15, s0
	global_load_dword v16, v[16:17], off
	global_load_dword v14, v[14:15], off
	s_waitcnt vmcnt(0)
	v_fmac_f32_e32 v5, v16, v14
	s_branch .LBB10_12
.LBB10_17:                              ;   in Loop: Header=BB10_10 Depth=2
	s_or_b32 exec_lo, exec_lo, s43
.LBB10_18:                              ;   in Loop: Header=BB10_10 Depth=2
	s_or_b32 exec_lo, exec_lo, s42
	s_mov_b32 s1, exec_lo
	v_cmpx_ge_i32_e64 v13, v28
	s_xor_b32 s1, exec_lo, s1
	s_cbranch_execnz .LBB10_21
; %bb.19:                               ;   in Loop: Header=BB10_10 Depth=2
	s_andn2_saveexec_b32 s1, s1
	s_cbranch_execnz .LBB10_30
.LBB10_20:                              ;   in Loop: Header=BB10_10 Depth=2
	s_or_b32 exec_lo, exec_lo, s1
	s_mov_b32 s1, exec_lo
	v_cmpx_eq_u32_e64 v1, v11
	s_cbranch_execz .LBB10_9
	s_branch .LBB10_37
.LBB10_21:                              ;   in Loop: Header=BB10_10 Depth=2
	s_mov_b32 s42, exec_lo
	v_cmpx_lt_i32_e64 v2, v23
	s_cbranch_execz .LBB10_29
; %bb.22:                               ;   in Loop: Header=BB10_10 Depth=2
	s_mov_b32 s43, 0
                                        ; implicit-def: $sgpr44
                                        ; implicit-def: $sgpr46
                                        ; implicit-def: $sgpr45
	s_inst_prefetch 0x1
	s_branch .LBB10_24
	.p2align	6
.LBB10_23:                              ;   in Loop: Header=BB10_24 Depth=3
	s_or_b32 exec_lo, exec_lo, s47
	s_and_b32 s0, exec_lo, s46
	s_or_b32 s43, s0, s43
	s_andn2_b32 s0, s44, exec_lo
	s_and_b32 s44, s45, exec_lo
	s_or_b32 s44, s0, s44
	s_andn2_b32 exec_lo, exec_lo, s43
	s_cbranch_execz .LBB10_26
.LBB10_24:                              ;   Parent Loop BB10_6 Depth=1
                                        ;     Parent Loop BB10_10 Depth=2
                                        ; =>    This Inner Loop Header: Depth=3
	v_add_nc_u32_e32 v12, v6, v2
	s_or_b32 s45, s45, exec_lo
	s_or_b32 s46, s46, exec_lo
	s_mov_b32 s47, exec_lo
	v_ashrrev_i32_e32 v13, 31, v12
	v_lshlrev_b64 v[12:13], 2, v[12:13]
	v_add_co_u32 v14, s0, s20, v12
	v_add_co_ci_u32_e64 v15, null, s21, v13, s0
	global_load_dword v14, v[14:15], off
	s_waitcnt vmcnt(0)
	v_subrev_nc_u32_e32 v14, s36, v14
	v_cmpx_ne_u32_e64 v14, v11
	s_cbranch_execz .LBB10_23
; %bb.25:                               ;   in Loop: Header=BB10_24 Depth=3
	v_add_nc_u32_e32 v2, 1, v2
	s_andn2_b32 s46, s46, exec_lo
	s_andn2_b32 s45, s45, exec_lo
	v_cmp_ge_i32_e64 s0, v2, v23
	s_and_b32 s0, s0, exec_lo
	s_or_b32 s46, s46, s0
	s_branch .LBB10_23
.LBB10_26:                              ;   in Loop: Header=BB10_10 Depth=2
	s_inst_prefetch 0x2
	s_or_b32 exec_lo, exec_lo, s43
	s_and_saveexec_b32 s0, s44
	s_xor_b32 s43, exec_lo, s0
	s_cbranch_execz .LBB10_28
; %bb.27:                               ;   in Loop: Header=BB10_10 Depth=2
	v_add_co_u32 v12, s0, s22, v12
	v_add_co_ci_u32_e64 v13, null, s23, v13, s0
	v_add_co_u32 v14, s0, s2, v9
	v_add_co_ci_u32_e64 v15, null, s3, v10, s0
	global_load_dword v2, v[12:13], off
	global_load_dword v12, v[14:15], off
	s_waitcnt vmcnt(0)
	v_fmac_f32_e32 v5, v2, v12
.LBB10_28:                              ;   in Loop: Header=BB10_10 Depth=2
	s_or_b32 exec_lo, exec_lo, s43
.LBB10_29:                              ;   in Loop: Header=BB10_10 Depth=2
	s_or_b32 exec_lo, exec_lo, s42
                                        ; implicit-def: $vgpr13
                                        ; implicit-def: $vgpr12
                                        ; implicit-def: $vgpr28
	s_andn2_saveexec_b32 s1, s1
	s_cbranch_execz .LBB10_20
.LBB10_30:                              ;   in Loop: Header=BB10_10 Depth=2
	s_mov_b32 s42, 0
                                        ; implicit-def: $sgpr43
                                        ; implicit-def: $sgpr45
                                        ; implicit-def: $sgpr44
	s_inst_prefetch 0x1
	s_branch .LBB10_32
	.p2align	6
.LBB10_31:                              ;   in Loop: Header=BB10_32 Depth=3
	s_or_b32 exec_lo, exec_lo, s46
	s_and_b32 s0, exec_lo, s45
	s_or_b32 s42, s0, s42
	s_andn2_b32 s0, s43, exec_lo
	s_and_b32 s43, s44, exec_lo
	s_or_b32 s43, s0, s43
	s_andn2_b32 exec_lo, exec_lo, s42
	s_cbranch_execz .LBB10_34
.LBB10_32:                              ;   Parent Loop BB10_6 Depth=1
                                        ;     Parent Loop BB10_10 Depth=2
                                        ; =>    This Inner Loop Header: Depth=3
	v_add_nc_u32_e32 v14, v12, v13
	s_or_b32 s44, s44, exec_lo
	s_or_b32 s45, s45, exec_lo
	s_mov_b32 s46, exec_lo
	v_ashrrev_i32_e32 v15, 31, v14
	v_lshlrev_b64 v[14:15], 2, v[14:15]
	v_add_co_u32 v16, s0, s12, v14
	v_add_co_ci_u32_e64 v17, null, s13, v15, s0
	global_load_dword v2, v[16:17], off
	s_waitcnt vmcnt(0)
	v_subrev_nc_u32_e32 v2, s37, v2
	v_cmpx_ne_u32_e64 v2, v1
	s_cbranch_execz .LBB10_31
; %bb.33:                               ;   in Loop: Header=BB10_32 Depth=3
	v_add_nc_u32_e32 v13, 1, v13
	s_andn2_b32 s45, s45, exec_lo
	s_andn2_b32 s44, s44, exec_lo
	v_cmp_ge_i32_e64 s0, v13, v28
	s_and_b32 s0, s0, exec_lo
	s_or_b32 s45, s45, s0
	s_branch .LBB10_31
.LBB10_34:                              ;   in Loop: Header=BB10_10 Depth=2
	s_inst_prefetch 0x2
	s_or_b32 exec_lo, exec_lo, s42
	s_and_saveexec_b32 s0, s43
	s_xor_b32 s42, exec_lo, s0
	s_cbranch_execz .LBB10_36
; %bb.35:                               ;   in Loop: Header=BB10_10 Depth=2
	v_add_co_u32 v12, s0, s14, v14
	v_add_co_ci_u32_e64 v13, null, s15, v15, s0
	global_load_dword v2, v[12:13], off
	s_waitcnt vmcnt(0)
	v_add_f32_e32 v5, v5, v2
.LBB10_36:                              ;   in Loop: Header=BB10_10 Depth=2
	s_or_b32 exec_lo, exec_lo, s42
	s_or_b32 exec_lo, exec_lo, s1
	s_mov_b32 s1, exec_lo
	v_cmpx_eq_u32_e64 v1, v11
	s_cbranch_execz .LBB10_9
.LBB10_37:                              ;   in Loop: Header=BB10_10 Depth=2
	v_add_co_u32 v9, s0, s2, v9
	v_add_co_ci_u32_e64 v10, null, s3, v10, s0
	global_load_dword v2, v[9:10], off
	s_waitcnt vmcnt(0)
	v_add_f32_e32 v5, v5, v2
	s_branch .LBB10_9
.LBB10_38:
	s_or_b32 exec_lo, exec_lo, s38
.LBB10_39:
	s_or_b32 exec_lo, exec_lo, s33
.LBB10_40:
	s_or_b32 exec_lo, exec_lo, s6
	v_mbcnt_lo_u32_b32 v1, -1, 0
	s_mov_b32 s0, exec_lo
	v_xor_b32_e32 v2, 4, v1
	v_xor_b32_e32 v3, 2, v1
	;; [unrolled: 1-line block ×3, first 2 shown]
	v_cmp_gt_i32_e32 vcc_lo, 32, v2
	v_cndmask_b32_e32 v2, v1, v2, vcc_lo
	v_cmp_gt_i32_e32 vcc_lo, 32, v3
	v_lshlrev_b32_e32 v2, 2, v2
	v_cndmask_b32_e32 v3, v1, v3, vcc_lo
	ds_bpermute_b32 v2, v2, v20
	v_lshlrev_b32_e32 v3, 2, v3
	s_waitcnt lgkmcnt(0)
	v_cmp_lt_f32_e32 vcc_lo, v20, v2
	v_cndmask_b32_e32 v2, v20, v2, vcc_lo
	v_cmp_gt_i32_e32 vcc_lo, 32, v4
	ds_bpermute_b32 v3, v3, v2
	v_cndmask_b32_e32 v4, v1, v4, vcc_lo
	s_waitcnt lgkmcnt(0)
	v_cmp_lt_f32_e32 vcc_lo, v2, v3
	v_cndmask_b32_e32 v1, v2, v3, vcc_lo
	v_lshlrev_b32_e32 v2, 2, v4
	ds_bpermute_b32 v2, v2, v1
	v_cmpx_eq_u32_e32 7, v19
	s_cbranch_execz .LBB10_42
; %bb.41:
	s_waitcnt lgkmcnt(0)
	v_cmp_lt_f32_e32 vcc_lo, v1, v2
	v_lshlrev_b32_e32 v3, 2, v18
	v_cndmask_b32_e32 v1, v1, v2, vcc_lo
	ds_write_b32 v3, v1
.LBB10_42:
	s_or_b32 exec_lo, exec_lo, s0
	v_lshlrev_b32_e32 v1, 2, v0
	s_mov_b32 s0, exec_lo
	s_waitcnt lgkmcnt(0)
	s_barrier
	buffer_gl0_inv
	v_cmpx_gt_u32_e32 64, v0
	s_cbranch_execz .LBB10_44
; %bb.43:
	ds_read2st64_b32 v[2:3], v1 offset1:1
	s_waitcnt lgkmcnt(0)
	v_cmp_lt_f32_e32 vcc_lo, v2, v3
	v_cndmask_b32_e32 v2, v2, v3, vcc_lo
	ds_write_b32 v1, v2
.LBB10_44:
	s_or_b32 exec_lo, exec_lo, s0
	s_mov_b32 s0, exec_lo
	s_waitcnt lgkmcnt(0)
	s_barrier
	buffer_gl0_inv
	v_cmpx_gt_u32_e32 32, v0
	s_cbranch_execz .LBB10_46
; %bb.45:
	ds_read2_b32 v[2:3], v1 offset1:32
	s_waitcnt lgkmcnt(0)
	v_cmp_lt_f32_e32 vcc_lo, v2, v3
	v_cndmask_b32_e32 v2, v2, v3, vcc_lo
	ds_write_b32 v1, v2
.LBB10_46:
	s_or_b32 exec_lo, exec_lo, s0
	s_mov_b32 s0, exec_lo
	s_waitcnt lgkmcnt(0)
	s_barrier
	buffer_gl0_inv
	v_cmpx_gt_u32_e32 16, v0
	s_cbranch_execz .LBB10_48
; %bb.47:
	ds_read2_b32 v[2:3], v1 offset1:16
	s_waitcnt lgkmcnt(0)
	v_cmp_lt_f32_e32 vcc_lo, v2, v3
	v_cndmask_b32_e32 v2, v2, v3, vcc_lo
	ds_write_b32 v1, v2
.LBB10_48:
	;; [unrolled: 14-line block ×5, first 2 shown]
	s_or_b32 exec_lo, exec_lo, s0
	v_cmp_eq_u32_e32 vcc_lo, 0, v0
	s_waitcnt lgkmcnt(0)
	s_barrier
	buffer_gl0_inv
	s_and_saveexec_b32 s1, vcc_lo
	s_cbranch_execz .LBB10_56
; %bb.55:
	v_mov_b32_e32 v2, 0
	ds_read_b64 v[0:1], v2
	s_waitcnt lgkmcnt(0)
	v_cmp_lt_f32_e64 s0, v0, v1
	v_cndmask_b32_e64 v0, v0, v1, s0
	ds_write_b32 v2, v0
.LBB10_56:
	s_or_b32 exec_lo, exec_lo, s1
	s_waitcnt lgkmcnt(0)
	s_barrier
	buffer_gl0_inv
	s_and_saveexec_b32 s0, vcc_lo
	s_cbranch_execz .LBB10_60
; %bb.57:
	v_mbcnt_lo_u32_b32 v0, exec_lo, 0
	s_mov_b32 s6, 0
	v_cmp_eq_u32_e32 vcc_lo, 0, v0
	s_and_b32 exec_lo, exec_lo, vcc_lo
	s_cbranch_execz .LBB10_60
; %bb.58:
	s_load_dwordx4 s[0:3], s[4:5], 0x88
	v_mov_b32_e32 v2, 0
	ds_read_b32 v0, v2
	s_waitcnt lgkmcnt(0)
	s_load_dword s2, s[2:3], 0x0
	s_load_dword s3, s[0:1], 0x0
	s_waitcnt lgkmcnt(0)
	v_div_scale_f32 v1, null, s2, s2, v0
	v_rcp_f32_e32 v3, v1
	v_fma_f32 v4, -v1, v3, 1.0
	v_fmac_f32_e32 v3, v4, v3
	v_div_scale_f32 v4, vcc_lo, v0, s2, v0
	v_mul_f32_e32 v5, v4, v3
	v_fma_f32 v6, -v1, v5, v4
	v_fmac_f32_e32 v5, v6, v3
	v_fma_f32 v1, -v1, v5, v4
	v_div_fmas_f32 v1, v1, v3, v5
	v_div_fixup_f32 v0, v1, s2, v0
	v_mov_b32_e32 v1, s3
	v_max_f32_e32 v3, v0, v0
.LBB10_59:                              ; =>This Inner Loop Header: Depth=1
	v_max_f32_e32 v0, v1, v1
	v_max_f32_e32 v0, v0, v3
	global_atomic_cmpswap v0, v2, v[0:1], s[0:1] glc
	s_waitcnt vmcnt(0)
	v_cmp_eq_u32_e32 vcc_lo, v0, v1
	v_mov_b32_e32 v1, v0
	s_or_b32 s6, vcc_lo, s6
	s_andn2_b32 exec_lo, exec_lo, s6
	s_cbranch_execnz .LBB10_59
.LBB10_60:
	s_endpgm
	.section	.rodata,"a",@progbits
	.p2align	6, 0x0
	.amdhsa_kernel _ZN9rocsparseL19kernel_nrm_residualILi1024ELi8EfiiEEvT3_T2_PKS2_S4_PKS1_PKT1_21rocsparse_index_base_S4_S4_S6_S9_SA_S4_S4_S6_S9_SA_S9_PNS_15floating_traitsIS7_E6data_tEPKSD_
		.amdhsa_group_segment_fixed_size 512
		.amdhsa_private_segment_fixed_size 0
		.amdhsa_kernarg_size 152
		.amdhsa_user_sgpr_count 6
		.amdhsa_user_sgpr_private_segment_buffer 1
		.amdhsa_user_sgpr_dispatch_ptr 0
		.amdhsa_user_sgpr_queue_ptr 0
		.amdhsa_user_sgpr_kernarg_segment_ptr 1
		.amdhsa_user_sgpr_dispatch_id 0
		.amdhsa_user_sgpr_flat_scratch_init 0
		.amdhsa_user_sgpr_private_segment_size 0
		.amdhsa_wavefront_size32 1
		.amdhsa_uses_dynamic_stack 0
		.amdhsa_system_sgpr_private_segment_wavefront_offset 0
		.amdhsa_system_sgpr_workgroup_id_x 1
		.amdhsa_system_sgpr_workgroup_id_y 0
		.amdhsa_system_sgpr_workgroup_id_z 0
		.amdhsa_system_sgpr_workgroup_info 0
		.amdhsa_system_vgpr_workitem_id 0
		.amdhsa_next_free_vgpr 37
		.amdhsa_next_free_sgpr 48
		.amdhsa_reserve_vcc 1
		.amdhsa_reserve_flat_scratch 0
		.amdhsa_float_round_mode_32 0
		.amdhsa_float_round_mode_16_64 0
		.amdhsa_float_denorm_mode_32 3
		.amdhsa_float_denorm_mode_16_64 3
		.amdhsa_dx10_clamp 1
		.amdhsa_ieee_mode 1
		.amdhsa_fp16_overflow 0
		.amdhsa_workgroup_processor_mode 1
		.amdhsa_memory_ordered 1
		.amdhsa_forward_progress 1
		.amdhsa_shared_vgpr_count 0
		.amdhsa_exception_fp_ieee_invalid_op 0
		.amdhsa_exception_fp_denorm_src 0
		.amdhsa_exception_fp_ieee_div_zero 0
		.amdhsa_exception_fp_ieee_overflow 0
		.amdhsa_exception_fp_ieee_underflow 0
		.amdhsa_exception_fp_ieee_inexact 0
		.amdhsa_exception_int_div_zero 0
	.end_amdhsa_kernel
	.section	.text._ZN9rocsparseL19kernel_nrm_residualILi1024ELi8EfiiEEvT3_T2_PKS2_S4_PKS1_PKT1_21rocsparse_index_base_S4_S4_S6_S9_SA_S4_S4_S6_S9_SA_S9_PNS_15floating_traitsIS7_E6data_tEPKSD_,"axG",@progbits,_ZN9rocsparseL19kernel_nrm_residualILi1024ELi8EfiiEEvT3_T2_PKS2_S4_PKS1_PKT1_21rocsparse_index_base_S4_S4_S6_S9_SA_S4_S4_S6_S9_SA_S9_PNS_15floating_traitsIS7_E6data_tEPKSD_,comdat
.Lfunc_end10:
	.size	_ZN9rocsparseL19kernel_nrm_residualILi1024ELi8EfiiEEvT3_T2_PKS2_S4_PKS1_PKT1_21rocsparse_index_base_S4_S4_S6_S9_SA_S4_S4_S6_S9_SA_S9_PNS_15floating_traitsIS7_E6data_tEPKSD_, .Lfunc_end10-_ZN9rocsparseL19kernel_nrm_residualILi1024ELi8EfiiEEvT3_T2_PKS2_S4_PKS1_PKT1_21rocsparse_index_base_S4_S4_S6_S9_SA_S4_S4_S6_S9_SA_S9_PNS_15floating_traitsIS7_E6data_tEPKSD_
                                        ; -- End function
	.set _ZN9rocsparseL19kernel_nrm_residualILi1024ELi8EfiiEEvT3_T2_PKS2_S4_PKS1_PKT1_21rocsparse_index_base_S4_S4_S6_S9_SA_S4_S4_S6_S9_SA_S9_PNS_15floating_traitsIS7_E6data_tEPKSD_.num_vgpr, 37
	.set _ZN9rocsparseL19kernel_nrm_residualILi1024ELi8EfiiEEvT3_T2_PKS2_S4_PKS1_PKT1_21rocsparse_index_base_S4_S4_S6_S9_SA_S4_S4_S6_S9_SA_S9_PNS_15floating_traitsIS7_E6data_tEPKSD_.num_agpr, 0
	.set _ZN9rocsparseL19kernel_nrm_residualILi1024ELi8EfiiEEvT3_T2_PKS2_S4_PKS1_PKT1_21rocsparse_index_base_S4_S4_S6_S9_SA_S4_S4_S6_S9_SA_S9_PNS_15floating_traitsIS7_E6data_tEPKSD_.numbered_sgpr, 48
	.set _ZN9rocsparseL19kernel_nrm_residualILi1024ELi8EfiiEEvT3_T2_PKS2_S4_PKS1_PKT1_21rocsparse_index_base_S4_S4_S6_S9_SA_S4_S4_S6_S9_SA_S9_PNS_15floating_traitsIS7_E6data_tEPKSD_.num_named_barrier, 0
	.set _ZN9rocsparseL19kernel_nrm_residualILi1024ELi8EfiiEEvT3_T2_PKS2_S4_PKS1_PKT1_21rocsparse_index_base_S4_S4_S6_S9_SA_S4_S4_S6_S9_SA_S9_PNS_15floating_traitsIS7_E6data_tEPKSD_.private_seg_size, 0
	.set _ZN9rocsparseL19kernel_nrm_residualILi1024ELi8EfiiEEvT3_T2_PKS2_S4_PKS1_PKT1_21rocsparse_index_base_S4_S4_S6_S9_SA_S4_S4_S6_S9_SA_S9_PNS_15floating_traitsIS7_E6data_tEPKSD_.uses_vcc, 1
	.set _ZN9rocsparseL19kernel_nrm_residualILi1024ELi8EfiiEEvT3_T2_PKS2_S4_PKS1_PKT1_21rocsparse_index_base_S4_S4_S6_S9_SA_S4_S4_S6_S9_SA_S9_PNS_15floating_traitsIS7_E6data_tEPKSD_.uses_flat_scratch, 0
	.set _ZN9rocsparseL19kernel_nrm_residualILi1024ELi8EfiiEEvT3_T2_PKS2_S4_PKS1_PKT1_21rocsparse_index_base_S4_S4_S6_S9_SA_S4_S4_S6_S9_SA_S9_PNS_15floating_traitsIS7_E6data_tEPKSD_.has_dyn_sized_stack, 0
	.set _ZN9rocsparseL19kernel_nrm_residualILi1024ELi8EfiiEEvT3_T2_PKS2_S4_PKS1_PKT1_21rocsparse_index_base_S4_S4_S6_S9_SA_S4_S4_S6_S9_SA_S9_PNS_15floating_traitsIS7_E6data_tEPKSD_.has_recursion, 0
	.set _ZN9rocsparseL19kernel_nrm_residualILi1024ELi8EfiiEEvT3_T2_PKS2_S4_PKS1_PKT1_21rocsparse_index_base_S4_S4_S6_S9_SA_S4_S4_S6_S9_SA_S9_PNS_15floating_traitsIS7_E6data_tEPKSD_.has_indirect_call, 0
	.section	.AMDGPU.csdata,"",@progbits
; Kernel info:
; codeLenInByte = 2400
; TotalNumSgprs: 50
; NumVgprs: 37
; ScratchSize: 0
; MemoryBound: 0
; FloatMode: 240
; IeeeMode: 1
; LDSByteSize: 512 bytes/workgroup (compile time only)
; SGPRBlocks: 0
; VGPRBlocks: 4
; NumSGPRsForWavesPerEU: 50
; NumVGPRsForWavesPerEU: 37
; Occupancy: 16
; WaveLimiterHint : 1
; COMPUTE_PGM_RSRC2:SCRATCH_EN: 0
; COMPUTE_PGM_RSRC2:USER_SGPR: 6
; COMPUTE_PGM_RSRC2:TRAP_HANDLER: 0
; COMPUTE_PGM_RSRC2:TGID_X_EN: 1
; COMPUTE_PGM_RSRC2:TGID_Y_EN: 0
; COMPUTE_PGM_RSRC2:TGID_Z_EN: 0
; COMPUTE_PGM_RSRC2:TIDIG_COMP_CNT: 0
	.section	.text._ZN9rocsparseL19kernel_nrm_residualILi1024ELi16EfiiEEvT3_T2_PKS2_S4_PKS1_PKT1_21rocsparse_index_base_S4_S4_S6_S9_SA_S4_S4_S6_S9_SA_S9_PNS_15floating_traitsIS7_E6data_tEPKSD_,"axG",@progbits,_ZN9rocsparseL19kernel_nrm_residualILi1024ELi16EfiiEEvT3_T2_PKS2_S4_PKS1_PKT1_21rocsparse_index_base_S4_S4_S6_S9_SA_S4_S4_S6_S9_SA_S9_PNS_15floating_traitsIS7_E6data_tEPKSD_,comdat
	.globl	_ZN9rocsparseL19kernel_nrm_residualILi1024ELi16EfiiEEvT3_T2_PKS2_S4_PKS1_PKT1_21rocsparse_index_base_S4_S4_S6_S9_SA_S4_S4_S6_S9_SA_S9_PNS_15floating_traitsIS7_E6data_tEPKSD_ ; -- Begin function _ZN9rocsparseL19kernel_nrm_residualILi1024ELi16EfiiEEvT3_T2_PKS2_S4_PKS1_PKT1_21rocsparse_index_base_S4_S4_S6_S9_SA_S4_S4_S6_S9_SA_S9_PNS_15floating_traitsIS7_E6data_tEPKSD_
	.p2align	8
	.type	_ZN9rocsparseL19kernel_nrm_residualILi1024ELi16EfiiEEvT3_T2_PKS2_S4_PKS1_PKT1_21rocsparse_index_base_S4_S4_S6_S9_SA_S4_S4_S6_S9_SA_S9_PNS_15floating_traitsIS7_E6data_tEPKSD_,@function
_ZN9rocsparseL19kernel_nrm_residualILi1024ELi16EfiiEEvT3_T2_PKS2_S4_PKS1_PKT1_21rocsparse_index_base_S4_S4_S6_S9_SA_S4_S4_S6_S9_SA_S9_PNS_15floating_traitsIS7_E6data_tEPKSD_: ; @_ZN9rocsparseL19kernel_nrm_residualILi1024ELi16EfiiEEvT3_T2_PKS2_S4_PKS1_PKT1_21rocsparse_index_base_S4_S4_S6_S9_SA_S4_S4_S6_S9_SA_S9_PNS_15floating_traitsIS7_E6data_tEPKSD_
; %bb.0:
	s_load_dword s7, s[4:5], 0x0
	v_lshrrev_b32_e32 v18, 4, v0
	s_lshl_b32 s34, s6, 10
	v_and_b32_e32 v19, 15, v0
	v_mov_b32_e32 v20, 0
	s_mov_b32 s6, exec_lo
	v_or_b32_e32 v1, s34, v18
	s_waitcnt lgkmcnt(0)
	v_cmpx_gt_i32_e64 s7, v1
	s_cbranch_execz .LBB11_40
; %bb.1:
	v_mov_b32_e32 v20, 0
	s_addk_i32 s34, 0x400
	s_mov_b32 s33, exec_lo
	v_cmpx_gt_u32_e64 s34, v1
	s_cbranch_execz .LBB11_39
; %bb.2:
	s_clause 0x6
	s_load_dword s35, s[4:5], 0x28
	s_load_dwordx8 s[8:15], s[4:5], 0x58
	s_load_dwordx8 s[16:23], s[4:5], 0x30
	;; [unrolled: 1-line block ×3, first 2 shown]
	s_load_dword s36, s[4:5], 0x50
	s_load_dwordx2 s[2:3], s[4:5], 0x80
	s_load_dword s37, s[4:5], 0x78
	v_mov_b32_e32 v3, 0
	v_mov_b32_e32 v20, 0
	s_mov_b32 s38, 0
	s_waitcnt lgkmcnt(0)
	v_subrev_nc_u32_e32 v21, s35, v19
	s_branch .LBB11_6
.LBB11_3:                               ;   in Loop: Header=BB11_6 Depth=1
	s_or_b32 exec_lo, exec_lo, s41
.LBB11_4:                               ;   in Loop: Header=BB11_6 Depth=1
	s_or_b32 exec_lo, exec_lo, s40
.LBB11_5:                               ;   in Loop: Header=BB11_6 Depth=1
	s_or_b32 exec_lo, exec_lo, s39
	v_add_nc_u32_e32 v1, 64, v1
	v_cmp_le_u32_e32 vcc_lo, s34, v1
	s_or_b32 s38, vcc_lo, s38
	s_andn2_b32 exec_lo, exec_lo, s38
	s_cbranch_execz .LBB11_38
.LBB11_6:                               ; =>This Loop Header: Depth=1
                                        ;     Child Loop BB11_10 Depth 2
                                        ;       Child Loop BB11_14 Depth 3
                                        ;       Child Loop BB11_24 Depth 3
	;; [unrolled: 1-line block ×3, first 2 shown]
	s_mov_b32 s39, exec_lo
	v_cmpx_gt_i32_e64 s7, v1
	s_cbranch_execz .LBB11_5
; %bb.7:                                ;   in Loop: Header=BB11_6 Depth=1
	v_ashrrev_i32_e32 v2, 31, v1
	s_mov_b32 s40, exec_lo
	v_lshlrev_b64 v[5:6], 2, v[1:2]
	v_add_co_u32 v7, vcc_lo, s24, v5
	v_add_co_ci_u32_e64 v8, null, s25, v6, vcc_lo
	v_add_co_u32 v9, vcc_lo, s26, v5
	v_add_co_ci_u32_e64 v10, null, s27, v6, vcc_lo
	global_load_dword v2, v[7:8], off
	global_load_dword v7, v[9:10], off
	s_waitcnt vmcnt(1)
	v_add_nc_u32_e32 v4, v21, v2
	s_waitcnt vmcnt(0)
	v_subrev_nc_u32_e32 v22, s35, v7
	v_cmpx_lt_i32_e64 v4, v22
	s_cbranch_execz .LBB11_4
; %bb.8:                                ;   in Loop: Header=BB11_6 Depth=1
	v_add_co_u32 v7, vcc_lo, s16, v5
	v_add_co_ci_u32_e64 v8, null, s17, v6, vcc_lo
	v_add_co_u32 v5, vcc_lo, s18, v5
	v_add_co_ci_u32_e64 v6, null, s19, v6, vcc_lo
	global_load_dword v2, v[7:8], off
	s_mov_b32 s41, 0
	global_load_dword v5, v[5:6], off
	s_waitcnt vmcnt(1)
	v_subrev_nc_u32_e32 v6, s36, v2
	s_waitcnt vmcnt(0)
	v_sub_nc_u32_e32 v23, v5, v2
	v_ashrrev_i32_e32 v7, 31, v6
	v_lshlrev_b64 v[7:8], 2, v[6:7]
	v_add_co_u32 v24, vcc_lo, s20, v7
	v_add_co_ci_u32_e64 v25, null, s21, v8, vcc_lo
	v_add_co_u32 v26, vcc_lo, s22, v7
	v_add_co_ci_u32_e64 v27, null, s23, v8, vcc_lo
	v_cmp_lt_i32_e32 vcc_lo, 0, v23
	s_branch .LBB11_10
.LBB11_9:                               ;   in Loop: Header=BB11_10 Depth=2
	s_or_b32 exec_lo, exec_lo, s1
	v_add_co_u32 v7, s0, s30, v7
	v_add_co_ci_u32_e64 v8, null, s31, v8, s0
	v_add_nc_u32_e32 v4, 16, v4
	global_load_dword v2, v[7:8], off
	v_cmp_ge_i32_e64 s0, v4, v22
	s_waitcnt vmcnt(0)
	v_sub_f32_e32 v2, v2, v5
	v_cmp_nlg_f32_e64 s1, 0x7f800000, |v2|
	v_cmp_gt_f32_e64 s42, v20, |v2|
	s_or_b32 s1, s1, s42
	s_or_b32 s41, s0, s41
	v_cndmask_b32_e64 v20, |v2|, v20, s1
	s_andn2_b32 exec_lo, exec_lo, s41
	s_cbranch_execz .LBB11_3
.LBB11_10:                              ;   Parent Loop BB11_6 Depth=1
                                        ; =>  This Loop Header: Depth=2
                                        ;       Child Loop BB11_14 Depth 3
                                        ;       Child Loop BB11_24 Depth 3
	;; [unrolled: 1-line block ×3, first 2 shown]
	v_ashrrev_i32_e32 v5, 31, v4
	v_lshlrev_b64 v[7:8], 2, v[4:5]
	v_mov_b32_e32 v5, 0
	v_add_co_u32 v9, s0, s28, v7
	v_add_co_ci_u32_e64 v10, null, s29, v8, s0
	global_load_dword v2, v[9:10], off
	s_waitcnt vmcnt(0)
	v_subrev_nc_u32_e32 v11, s35, v2
	v_ashrrev_i32_e32 v12, 31, v11
	v_lshlrev_b64 v[9:10], 2, v[11:12]
	v_add_co_u32 v12, s0, s8, v9
	v_add_co_ci_u32_e64 v13, null, s9, v10, s0
	v_add_co_u32 v14, s0, s10, v9
	v_add_co_ci_u32_e64 v15, null, s11, v10, s0
	global_load_dword v2, v[12:13], off
	global_load_dword v14, v[14:15], off
	v_mov_b32_e32 v13, 0
	s_waitcnt vmcnt(1)
	v_subrev_nc_u32_e32 v12, s37, v2
	s_waitcnt vmcnt(0)
	v_sub_nc_u32_e32 v28, v14, v2
	v_mov_b32_e32 v2, v13
	s_and_saveexec_b32 s42, vcc_lo
	s_cbranch_execz .LBB11_18
; %bb.11:                               ;   in Loop: Header=BB11_10 Depth=2
	v_ashrrev_i32_e32 v13, 31, v12
	v_mov_b32_e32 v5, 0
	v_mov_b32_e32 v2, 0
	s_mov_b32 s43, 0
                                        ; implicit-def: $sgpr44
	v_lshlrev_b64 v[13:14], 2, v[12:13]
	v_add_co_u32 v29, s0, s12, v13
	v_add_co_ci_u32_e64 v30, null, s13, v14, s0
	v_add_co_u32 v31, s0, s14, v13
	v_add_co_ci_u32_e64 v32, null, s15, v14, s0
	v_mov_b32_e32 v13, 0
	s_branch .LBB11_14
.LBB11_12:                              ;   in Loop: Header=BB11_14 Depth=3
	s_or_b32 exec_lo, exec_lo, s1
	v_cmp_le_i32_e64 s0, v33, v34
	v_cmp_ge_i32_e64 s1, v33, v34
	v_add_co_ci_u32_e64 v2, null, 0, v2, s0
	v_add_co_ci_u32_e64 v13, null, 0, v13, s1
	s_andn2_b32 s1, s44, exec_lo
	v_cmp_ge_i32_e64 s0, v2, v23
	s_and_b32 s0, s0, exec_lo
	s_or_b32 s44, s1, s0
.LBB11_13:                              ;   in Loop: Header=BB11_14 Depth=3
	s_or_b32 exec_lo, exec_lo, s45
	s_and_b32 s0, exec_lo, s44
	s_or_b32 s43, s0, s43
	s_andn2_b32 exec_lo, exec_lo, s43
	s_cbranch_execz .LBB11_17
.LBB11_14:                              ;   Parent Loop BB11_6 Depth=1
                                        ;     Parent Loop BB11_10 Depth=2
                                        ; =>    This Inner Loop Header: Depth=3
	s_or_b32 s44, s44, exec_lo
	s_mov_b32 s45, exec_lo
	v_cmpx_lt_i32_e64 v13, v28
	s_cbranch_execz .LBB11_13
; %bb.15:                               ;   in Loop: Header=BB11_14 Depth=3
	v_mov_b32_e32 v14, v3
	v_lshlrev_b64 v[16:17], 2, v[2:3]
	s_mov_b32 s1, exec_lo
	v_lshlrev_b64 v[14:15], 2, v[13:14]
	v_add_co_u32 v33, s0, v24, v16
	v_add_co_ci_u32_e64 v34, null, v25, v17, s0
	v_add_co_u32 v35, s0, v29, v14
	v_add_co_ci_u32_e64 v36, null, v30, v15, s0
	global_load_dword v33, v[33:34], off
	global_load_dword v34, v[35:36], off
	s_waitcnt vmcnt(1)
	v_subrev_nc_u32_e32 v33, s36, v33
	s_waitcnt vmcnt(0)
	v_subrev_nc_u32_e32 v34, s37, v34
	v_cmpx_eq_u32_e64 v33, v34
	s_cbranch_execz .LBB11_12
; %bb.16:                               ;   in Loop: Header=BB11_14 Depth=3
	v_add_co_u32 v16, s0, v26, v16
	v_add_co_ci_u32_e64 v17, null, v27, v17, s0
	v_add_co_u32 v14, s0, v31, v14
	v_add_co_ci_u32_e64 v15, null, v32, v15, s0
	global_load_dword v16, v[16:17], off
	global_load_dword v14, v[14:15], off
	s_waitcnt vmcnt(0)
	v_fmac_f32_e32 v5, v16, v14
	s_branch .LBB11_12
.LBB11_17:                              ;   in Loop: Header=BB11_10 Depth=2
	s_or_b32 exec_lo, exec_lo, s43
.LBB11_18:                              ;   in Loop: Header=BB11_10 Depth=2
	s_or_b32 exec_lo, exec_lo, s42
	s_mov_b32 s1, exec_lo
	v_cmpx_ge_i32_e64 v13, v28
	s_xor_b32 s1, exec_lo, s1
	s_cbranch_execnz .LBB11_21
; %bb.19:                               ;   in Loop: Header=BB11_10 Depth=2
	s_andn2_saveexec_b32 s1, s1
	s_cbranch_execnz .LBB11_30
.LBB11_20:                              ;   in Loop: Header=BB11_10 Depth=2
	s_or_b32 exec_lo, exec_lo, s1
	s_mov_b32 s1, exec_lo
	v_cmpx_eq_u32_e64 v1, v11
	s_cbranch_execz .LBB11_9
	s_branch .LBB11_37
.LBB11_21:                              ;   in Loop: Header=BB11_10 Depth=2
	s_mov_b32 s42, exec_lo
	v_cmpx_lt_i32_e64 v2, v23
	s_cbranch_execz .LBB11_29
; %bb.22:                               ;   in Loop: Header=BB11_10 Depth=2
	s_mov_b32 s43, 0
                                        ; implicit-def: $sgpr44
                                        ; implicit-def: $sgpr46
                                        ; implicit-def: $sgpr45
	s_inst_prefetch 0x1
	s_branch .LBB11_24
	.p2align	6
.LBB11_23:                              ;   in Loop: Header=BB11_24 Depth=3
	s_or_b32 exec_lo, exec_lo, s47
	s_and_b32 s0, exec_lo, s46
	s_or_b32 s43, s0, s43
	s_andn2_b32 s0, s44, exec_lo
	s_and_b32 s44, s45, exec_lo
	s_or_b32 s44, s0, s44
	s_andn2_b32 exec_lo, exec_lo, s43
	s_cbranch_execz .LBB11_26
.LBB11_24:                              ;   Parent Loop BB11_6 Depth=1
                                        ;     Parent Loop BB11_10 Depth=2
                                        ; =>    This Inner Loop Header: Depth=3
	v_add_nc_u32_e32 v12, v6, v2
	s_or_b32 s45, s45, exec_lo
	s_or_b32 s46, s46, exec_lo
	s_mov_b32 s47, exec_lo
	v_ashrrev_i32_e32 v13, 31, v12
	v_lshlrev_b64 v[12:13], 2, v[12:13]
	v_add_co_u32 v14, s0, s20, v12
	v_add_co_ci_u32_e64 v15, null, s21, v13, s0
	global_load_dword v14, v[14:15], off
	s_waitcnt vmcnt(0)
	v_subrev_nc_u32_e32 v14, s36, v14
	v_cmpx_ne_u32_e64 v14, v11
	s_cbranch_execz .LBB11_23
; %bb.25:                               ;   in Loop: Header=BB11_24 Depth=3
	v_add_nc_u32_e32 v2, 1, v2
	s_andn2_b32 s46, s46, exec_lo
	s_andn2_b32 s45, s45, exec_lo
	v_cmp_ge_i32_e64 s0, v2, v23
	s_and_b32 s0, s0, exec_lo
	s_or_b32 s46, s46, s0
	s_branch .LBB11_23
.LBB11_26:                              ;   in Loop: Header=BB11_10 Depth=2
	s_inst_prefetch 0x2
	s_or_b32 exec_lo, exec_lo, s43
	s_and_saveexec_b32 s0, s44
	s_xor_b32 s43, exec_lo, s0
	s_cbranch_execz .LBB11_28
; %bb.27:                               ;   in Loop: Header=BB11_10 Depth=2
	v_add_co_u32 v12, s0, s22, v12
	v_add_co_ci_u32_e64 v13, null, s23, v13, s0
	v_add_co_u32 v14, s0, s2, v9
	v_add_co_ci_u32_e64 v15, null, s3, v10, s0
	global_load_dword v2, v[12:13], off
	global_load_dword v12, v[14:15], off
	s_waitcnt vmcnt(0)
	v_fmac_f32_e32 v5, v2, v12
.LBB11_28:                              ;   in Loop: Header=BB11_10 Depth=2
	s_or_b32 exec_lo, exec_lo, s43
.LBB11_29:                              ;   in Loop: Header=BB11_10 Depth=2
	s_or_b32 exec_lo, exec_lo, s42
                                        ; implicit-def: $vgpr13
                                        ; implicit-def: $vgpr12
                                        ; implicit-def: $vgpr28
	s_andn2_saveexec_b32 s1, s1
	s_cbranch_execz .LBB11_20
.LBB11_30:                              ;   in Loop: Header=BB11_10 Depth=2
	s_mov_b32 s42, 0
                                        ; implicit-def: $sgpr43
                                        ; implicit-def: $sgpr45
                                        ; implicit-def: $sgpr44
	s_inst_prefetch 0x1
	s_branch .LBB11_32
	.p2align	6
.LBB11_31:                              ;   in Loop: Header=BB11_32 Depth=3
	s_or_b32 exec_lo, exec_lo, s46
	s_and_b32 s0, exec_lo, s45
	s_or_b32 s42, s0, s42
	s_andn2_b32 s0, s43, exec_lo
	s_and_b32 s43, s44, exec_lo
	s_or_b32 s43, s0, s43
	s_andn2_b32 exec_lo, exec_lo, s42
	s_cbranch_execz .LBB11_34
.LBB11_32:                              ;   Parent Loop BB11_6 Depth=1
                                        ;     Parent Loop BB11_10 Depth=2
                                        ; =>    This Inner Loop Header: Depth=3
	v_add_nc_u32_e32 v14, v12, v13
	s_or_b32 s44, s44, exec_lo
	s_or_b32 s45, s45, exec_lo
	s_mov_b32 s46, exec_lo
	v_ashrrev_i32_e32 v15, 31, v14
	v_lshlrev_b64 v[14:15], 2, v[14:15]
	v_add_co_u32 v16, s0, s12, v14
	v_add_co_ci_u32_e64 v17, null, s13, v15, s0
	global_load_dword v2, v[16:17], off
	s_waitcnt vmcnt(0)
	v_subrev_nc_u32_e32 v2, s37, v2
	v_cmpx_ne_u32_e64 v2, v1
	s_cbranch_execz .LBB11_31
; %bb.33:                               ;   in Loop: Header=BB11_32 Depth=3
	v_add_nc_u32_e32 v13, 1, v13
	s_andn2_b32 s45, s45, exec_lo
	s_andn2_b32 s44, s44, exec_lo
	v_cmp_ge_i32_e64 s0, v13, v28
	s_and_b32 s0, s0, exec_lo
	s_or_b32 s45, s45, s0
	s_branch .LBB11_31
.LBB11_34:                              ;   in Loop: Header=BB11_10 Depth=2
	s_inst_prefetch 0x2
	s_or_b32 exec_lo, exec_lo, s42
	s_and_saveexec_b32 s0, s43
	s_xor_b32 s42, exec_lo, s0
	s_cbranch_execz .LBB11_36
; %bb.35:                               ;   in Loop: Header=BB11_10 Depth=2
	v_add_co_u32 v12, s0, s14, v14
	v_add_co_ci_u32_e64 v13, null, s15, v15, s0
	global_load_dword v2, v[12:13], off
	s_waitcnt vmcnt(0)
	v_add_f32_e32 v5, v5, v2
.LBB11_36:                              ;   in Loop: Header=BB11_10 Depth=2
	s_or_b32 exec_lo, exec_lo, s42
	s_or_b32 exec_lo, exec_lo, s1
	s_mov_b32 s1, exec_lo
	v_cmpx_eq_u32_e64 v1, v11
	s_cbranch_execz .LBB11_9
.LBB11_37:                              ;   in Loop: Header=BB11_10 Depth=2
	v_add_co_u32 v9, s0, s2, v9
	v_add_co_ci_u32_e64 v10, null, s3, v10, s0
	global_load_dword v2, v[9:10], off
	s_waitcnt vmcnt(0)
	v_add_f32_e32 v5, v5, v2
	s_branch .LBB11_9
.LBB11_38:
	s_or_b32 exec_lo, exec_lo, s38
.LBB11_39:
	s_or_b32 exec_lo, exec_lo, s33
.LBB11_40:
	s_or_b32 exec_lo, exec_lo, s6
	v_mbcnt_lo_u32_b32 v1, -1, 0
	s_mov_b32 s0, exec_lo
	v_xor_b32_e32 v2, 8, v1
	v_xor_b32_e32 v3, 4, v1
	;; [unrolled: 1-line block ×3, first 2 shown]
	v_cmp_gt_i32_e32 vcc_lo, 32, v2
	v_cndmask_b32_e32 v2, v1, v2, vcc_lo
	v_cmp_gt_i32_e32 vcc_lo, 32, v3
	v_lshlrev_b32_e32 v2, 2, v2
	v_cndmask_b32_e32 v3, v1, v3, vcc_lo
	ds_bpermute_b32 v2, v2, v20
	v_lshlrev_b32_e32 v3, 2, v3
	s_waitcnt lgkmcnt(0)
	v_cmp_lt_f32_e32 vcc_lo, v20, v2
	v_cndmask_b32_e32 v2, v20, v2, vcc_lo
	v_cmp_gt_i32_e32 vcc_lo, 32, v4
	ds_bpermute_b32 v3, v3, v2
	v_cndmask_b32_e32 v4, v1, v4, vcc_lo
	v_lshlrev_b32_e32 v4, 2, v4
	s_waitcnt lgkmcnt(0)
	v_cmp_lt_f32_e32 vcc_lo, v2, v3
	v_cndmask_b32_e32 v2, v2, v3, vcc_lo
	ds_bpermute_b32 v3, v4, v2
	v_xor_b32_e32 v4, 1, v1
	v_cmp_gt_i32_e32 vcc_lo, 32, v4
	v_cndmask_b32_e32 v4, v1, v4, vcc_lo
	s_waitcnt lgkmcnt(0)
	v_cmp_lt_f32_e32 vcc_lo, v2, v3
	v_cndmask_b32_e32 v1, v2, v3, vcc_lo
	v_lshlrev_b32_e32 v2, 2, v4
	ds_bpermute_b32 v2, v2, v1
	v_cmpx_eq_u32_e32 15, v19
	s_cbranch_execz .LBB11_42
; %bb.41:
	s_waitcnt lgkmcnt(0)
	v_cmp_lt_f32_e32 vcc_lo, v1, v2
	v_lshlrev_b32_e32 v3, 2, v18
	v_cndmask_b32_e32 v1, v1, v2, vcc_lo
	ds_write_b32 v3, v1
.LBB11_42:
	s_or_b32 exec_lo, exec_lo, s0
	v_lshlrev_b32_e32 v1, 2, v0
	s_mov_b32 s0, exec_lo
	s_waitcnt lgkmcnt(0)
	s_barrier
	buffer_gl0_inv
	v_cmpx_gt_u32_e32 32, v0
	s_cbranch_execz .LBB11_44
; %bb.43:
	ds_read2_b32 v[2:3], v1 offset1:32
	s_waitcnt lgkmcnt(0)
	v_cmp_lt_f32_e32 vcc_lo, v2, v3
	v_cndmask_b32_e32 v2, v2, v3, vcc_lo
	ds_write_b32 v1, v2
.LBB11_44:
	s_or_b32 exec_lo, exec_lo, s0
	s_mov_b32 s0, exec_lo
	s_waitcnt lgkmcnt(0)
	s_barrier
	buffer_gl0_inv
	v_cmpx_gt_u32_e32 16, v0
	s_cbranch_execz .LBB11_46
; %bb.45:
	ds_read2_b32 v[2:3], v1 offset1:16
	s_waitcnt lgkmcnt(0)
	v_cmp_lt_f32_e32 vcc_lo, v2, v3
	v_cndmask_b32_e32 v2, v2, v3, vcc_lo
	ds_write_b32 v1, v2
.LBB11_46:
	s_or_b32 exec_lo, exec_lo, s0
	s_mov_b32 s0, exec_lo
	s_waitcnt lgkmcnt(0)
	s_barrier
	buffer_gl0_inv
	v_cmpx_gt_u32_e32 8, v0
	s_cbranch_execz .LBB11_48
; %bb.47:
	ds_read2_b32 v[2:3], v1 offset1:8
	s_waitcnt lgkmcnt(0)
	v_cmp_lt_f32_e32 vcc_lo, v2, v3
	v_cndmask_b32_e32 v2, v2, v3, vcc_lo
	ds_write_b32 v1, v2
.LBB11_48:
	s_or_b32 exec_lo, exec_lo, s0
	s_mov_b32 s0, exec_lo
	s_waitcnt lgkmcnt(0)
	s_barrier
	buffer_gl0_inv
	v_cmpx_gt_u32_e32 4, v0
	s_cbranch_execz .LBB11_50
; %bb.49:
	ds_read2_b32 v[2:3], v1 offset1:4
	s_waitcnt lgkmcnt(0)
	v_cmp_lt_f32_e32 vcc_lo, v2, v3
	v_cndmask_b32_e32 v2, v2, v3, vcc_lo
	ds_write_b32 v1, v2
.LBB11_50:
	s_or_b32 exec_lo, exec_lo, s0
	s_mov_b32 s0, exec_lo
	s_waitcnt lgkmcnt(0)
	s_barrier
	buffer_gl0_inv
	v_cmpx_gt_u32_e32 2, v0
	s_cbranch_execz .LBB11_52
; %bb.51:
	ds_read2_b32 v[2:3], v1 offset1:2
	s_waitcnt lgkmcnt(0)
	v_cmp_lt_f32_e32 vcc_lo, v2, v3
	v_cndmask_b32_e32 v2, v2, v3, vcc_lo
	ds_write_b32 v1, v2
.LBB11_52:
	s_or_b32 exec_lo, exec_lo, s0
	v_cmp_eq_u32_e32 vcc_lo, 0, v0
	s_waitcnt lgkmcnt(0)
	s_barrier
	buffer_gl0_inv
	s_and_saveexec_b32 s1, vcc_lo
	s_cbranch_execz .LBB11_54
; %bb.53:
	v_mov_b32_e32 v2, 0
	ds_read_b64 v[0:1], v2
	s_waitcnt lgkmcnt(0)
	v_cmp_lt_f32_e64 s0, v0, v1
	v_cndmask_b32_e64 v0, v0, v1, s0
	ds_write_b32 v2, v0
.LBB11_54:
	s_or_b32 exec_lo, exec_lo, s1
	s_waitcnt lgkmcnt(0)
	s_barrier
	buffer_gl0_inv
	s_and_saveexec_b32 s0, vcc_lo
	s_cbranch_execz .LBB11_58
; %bb.55:
	v_mbcnt_lo_u32_b32 v0, exec_lo, 0
	s_mov_b32 s6, 0
	v_cmp_eq_u32_e32 vcc_lo, 0, v0
	s_and_b32 exec_lo, exec_lo, vcc_lo
	s_cbranch_execz .LBB11_58
; %bb.56:
	s_load_dwordx4 s[0:3], s[4:5], 0x88
	v_mov_b32_e32 v2, 0
	ds_read_b32 v0, v2
	s_waitcnt lgkmcnt(0)
	s_load_dword s2, s[2:3], 0x0
	s_load_dword s3, s[0:1], 0x0
	s_waitcnt lgkmcnt(0)
	v_div_scale_f32 v1, null, s2, s2, v0
	v_rcp_f32_e32 v3, v1
	v_fma_f32 v4, -v1, v3, 1.0
	v_fmac_f32_e32 v3, v4, v3
	v_div_scale_f32 v4, vcc_lo, v0, s2, v0
	v_mul_f32_e32 v5, v4, v3
	v_fma_f32 v6, -v1, v5, v4
	v_fmac_f32_e32 v5, v6, v3
	v_fma_f32 v1, -v1, v5, v4
	v_div_fmas_f32 v1, v1, v3, v5
	v_div_fixup_f32 v0, v1, s2, v0
	v_mov_b32_e32 v1, s3
	v_max_f32_e32 v3, v0, v0
.LBB11_57:                              ; =>This Inner Loop Header: Depth=1
	v_max_f32_e32 v0, v1, v1
	v_max_f32_e32 v0, v0, v3
	global_atomic_cmpswap v0, v2, v[0:1], s[0:1] glc
	s_waitcnt vmcnt(0)
	v_cmp_eq_u32_e32 vcc_lo, v0, v1
	v_mov_b32_e32 v1, v0
	s_or_b32 s6, vcc_lo, s6
	s_andn2_b32 exec_lo, exec_lo, s6
	s_cbranch_execnz .LBB11_57
.LBB11_58:
	s_endpgm
	.section	.rodata,"a",@progbits
	.p2align	6, 0x0
	.amdhsa_kernel _ZN9rocsparseL19kernel_nrm_residualILi1024ELi16EfiiEEvT3_T2_PKS2_S4_PKS1_PKT1_21rocsparse_index_base_S4_S4_S6_S9_SA_S4_S4_S6_S9_SA_S9_PNS_15floating_traitsIS7_E6data_tEPKSD_
		.amdhsa_group_segment_fixed_size 256
		.amdhsa_private_segment_fixed_size 0
		.amdhsa_kernarg_size 152
		.amdhsa_user_sgpr_count 6
		.amdhsa_user_sgpr_private_segment_buffer 1
		.amdhsa_user_sgpr_dispatch_ptr 0
		.amdhsa_user_sgpr_queue_ptr 0
		.amdhsa_user_sgpr_kernarg_segment_ptr 1
		.amdhsa_user_sgpr_dispatch_id 0
		.amdhsa_user_sgpr_flat_scratch_init 0
		.amdhsa_user_sgpr_private_segment_size 0
		.amdhsa_wavefront_size32 1
		.amdhsa_uses_dynamic_stack 0
		.amdhsa_system_sgpr_private_segment_wavefront_offset 0
		.amdhsa_system_sgpr_workgroup_id_x 1
		.amdhsa_system_sgpr_workgroup_id_y 0
		.amdhsa_system_sgpr_workgroup_id_z 0
		.amdhsa_system_sgpr_workgroup_info 0
		.amdhsa_system_vgpr_workitem_id 0
		.amdhsa_next_free_vgpr 37
		.amdhsa_next_free_sgpr 48
		.amdhsa_reserve_vcc 1
		.amdhsa_reserve_flat_scratch 0
		.amdhsa_float_round_mode_32 0
		.amdhsa_float_round_mode_16_64 0
		.amdhsa_float_denorm_mode_32 3
		.amdhsa_float_denorm_mode_16_64 3
		.amdhsa_dx10_clamp 1
		.amdhsa_ieee_mode 1
		.amdhsa_fp16_overflow 0
		.amdhsa_workgroup_processor_mode 1
		.amdhsa_memory_ordered 1
		.amdhsa_forward_progress 1
		.amdhsa_shared_vgpr_count 0
		.amdhsa_exception_fp_ieee_invalid_op 0
		.amdhsa_exception_fp_denorm_src 0
		.amdhsa_exception_fp_ieee_div_zero 0
		.amdhsa_exception_fp_ieee_overflow 0
		.amdhsa_exception_fp_ieee_underflow 0
		.amdhsa_exception_fp_ieee_inexact 0
		.amdhsa_exception_int_div_zero 0
	.end_amdhsa_kernel
	.section	.text._ZN9rocsparseL19kernel_nrm_residualILi1024ELi16EfiiEEvT3_T2_PKS2_S4_PKS1_PKT1_21rocsparse_index_base_S4_S4_S6_S9_SA_S4_S4_S6_S9_SA_S9_PNS_15floating_traitsIS7_E6data_tEPKSD_,"axG",@progbits,_ZN9rocsparseL19kernel_nrm_residualILi1024ELi16EfiiEEvT3_T2_PKS2_S4_PKS1_PKT1_21rocsparse_index_base_S4_S4_S6_S9_SA_S4_S4_S6_S9_SA_S9_PNS_15floating_traitsIS7_E6data_tEPKSD_,comdat
.Lfunc_end11:
	.size	_ZN9rocsparseL19kernel_nrm_residualILi1024ELi16EfiiEEvT3_T2_PKS2_S4_PKS1_PKT1_21rocsparse_index_base_S4_S4_S6_S9_SA_S4_S4_S6_S9_SA_S9_PNS_15floating_traitsIS7_E6data_tEPKSD_, .Lfunc_end11-_ZN9rocsparseL19kernel_nrm_residualILi1024ELi16EfiiEEvT3_T2_PKS2_S4_PKS1_PKT1_21rocsparse_index_base_S4_S4_S6_S9_SA_S4_S4_S6_S9_SA_S9_PNS_15floating_traitsIS7_E6data_tEPKSD_
                                        ; -- End function
	.set _ZN9rocsparseL19kernel_nrm_residualILi1024ELi16EfiiEEvT3_T2_PKS2_S4_PKS1_PKT1_21rocsparse_index_base_S4_S4_S6_S9_SA_S4_S4_S6_S9_SA_S9_PNS_15floating_traitsIS7_E6data_tEPKSD_.num_vgpr, 37
	.set _ZN9rocsparseL19kernel_nrm_residualILi1024ELi16EfiiEEvT3_T2_PKS2_S4_PKS1_PKT1_21rocsparse_index_base_S4_S4_S6_S9_SA_S4_S4_S6_S9_SA_S9_PNS_15floating_traitsIS7_E6data_tEPKSD_.num_agpr, 0
	.set _ZN9rocsparseL19kernel_nrm_residualILi1024ELi16EfiiEEvT3_T2_PKS2_S4_PKS1_PKT1_21rocsparse_index_base_S4_S4_S6_S9_SA_S4_S4_S6_S9_SA_S9_PNS_15floating_traitsIS7_E6data_tEPKSD_.numbered_sgpr, 48
	.set _ZN9rocsparseL19kernel_nrm_residualILi1024ELi16EfiiEEvT3_T2_PKS2_S4_PKS1_PKT1_21rocsparse_index_base_S4_S4_S6_S9_SA_S4_S4_S6_S9_SA_S9_PNS_15floating_traitsIS7_E6data_tEPKSD_.num_named_barrier, 0
	.set _ZN9rocsparseL19kernel_nrm_residualILi1024ELi16EfiiEEvT3_T2_PKS2_S4_PKS1_PKT1_21rocsparse_index_base_S4_S4_S6_S9_SA_S4_S4_S6_S9_SA_S9_PNS_15floating_traitsIS7_E6data_tEPKSD_.private_seg_size, 0
	.set _ZN9rocsparseL19kernel_nrm_residualILi1024ELi16EfiiEEvT3_T2_PKS2_S4_PKS1_PKT1_21rocsparse_index_base_S4_S4_S6_S9_SA_S4_S4_S6_S9_SA_S9_PNS_15floating_traitsIS7_E6data_tEPKSD_.uses_vcc, 1
	.set _ZN9rocsparseL19kernel_nrm_residualILi1024ELi16EfiiEEvT3_T2_PKS2_S4_PKS1_PKT1_21rocsparse_index_base_S4_S4_S6_S9_SA_S4_S4_S6_S9_SA_S9_PNS_15floating_traitsIS7_E6data_tEPKSD_.uses_flat_scratch, 0
	.set _ZN9rocsparseL19kernel_nrm_residualILi1024ELi16EfiiEEvT3_T2_PKS2_S4_PKS1_PKT1_21rocsparse_index_base_S4_S4_S6_S9_SA_S4_S4_S6_S9_SA_S9_PNS_15floating_traitsIS7_E6data_tEPKSD_.has_dyn_sized_stack, 0
	.set _ZN9rocsparseL19kernel_nrm_residualILi1024ELi16EfiiEEvT3_T2_PKS2_S4_PKS1_PKT1_21rocsparse_index_base_S4_S4_S6_S9_SA_S4_S4_S6_S9_SA_S9_PNS_15floating_traitsIS7_E6data_tEPKSD_.has_recursion, 0
	.set _ZN9rocsparseL19kernel_nrm_residualILi1024ELi16EfiiEEvT3_T2_PKS2_S4_PKS1_PKT1_21rocsparse_index_base_S4_S4_S6_S9_SA_S4_S4_S6_S9_SA_S9_PNS_15floating_traitsIS7_E6data_tEPKSD_.has_indirect_call, 0
	.section	.AMDGPU.csdata,"",@progbits
; Kernel info:
; codeLenInByte = 2376
; TotalNumSgprs: 50
; NumVgprs: 37
; ScratchSize: 0
; MemoryBound: 0
; FloatMode: 240
; IeeeMode: 1
; LDSByteSize: 256 bytes/workgroup (compile time only)
; SGPRBlocks: 0
; VGPRBlocks: 4
; NumSGPRsForWavesPerEU: 50
; NumVGPRsForWavesPerEU: 37
; Occupancy: 16
; WaveLimiterHint : 1
; COMPUTE_PGM_RSRC2:SCRATCH_EN: 0
; COMPUTE_PGM_RSRC2:USER_SGPR: 6
; COMPUTE_PGM_RSRC2:TRAP_HANDLER: 0
; COMPUTE_PGM_RSRC2:TGID_X_EN: 1
; COMPUTE_PGM_RSRC2:TGID_Y_EN: 0
; COMPUTE_PGM_RSRC2:TGID_Z_EN: 0
; COMPUTE_PGM_RSRC2:TIDIG_COMP_CNT: 0
	.section	.text._ZN9rocsparseL19kernel_nrm_residualILi1024ELi32EfiiEEvT3_T2_PKS2_S4_PKS1_PKT1_21rocsparse_index_base_S4_S4_S6_S9_SA_S4_S4_S6_S9_SA_S9_PNS_15floating_traitsIS7_E6data_tEPKSD_,"axG",@progbits,_ZN9rocsparseL19kernel_nrm_residualILi1024ELi32EfiiEEvT3_T2_PKS2_S4_PKS1_PKT1_21rocsparse_index_base_S4_S4_S6_S9_SA_S4_S4_S6_S9_SA_S9_PNS_15floating_traitsIS7_E6data_tEPKSD_,comdat
	.globl	_ZN9rocsparseL19kernel_nrm_residualILi1024ELi32EfiiEEvT3_T2_PKS2_S4_PKS1_PKT1_21rocsparse_index_base_S4_S4_S6_S9_SA_S4_S4_S6_S9_SA_S9_PNS_15floating_traitsIS7_E6data_tEPKSD_ ; -- Begin function _ZN9rocsparseL19kernel_nrm_residualILi1024ELi32EfiiEEvT3_T2_PKS2_S4_PKS1_PKT1_21rocsparse_index_base_S4_S4_S6_S9_SA_S4_S4_S6_S9_SA_S9_PNS_15floating_traitsIS7_E6data_tEPKSD_
	.p2align	8
	.type	_ZN9rocsparseL19kernel_nrm_residualILi1024ELi32EfiiEEvT3_T2_PKS2_S4_PKS1_PKT1_21rocsparse_index_base_S4_S4_S6_S9_SA_S4_S4_S6_S9_SA_S9_PNS_15floating_traitsIS7_E6data_tEPKSD_,@function
_ZN9rocsparseL19kernel_nrm_residualILi1024ELi32EfiiEEvT3_T2_PKS2_S4_PKS1_PKT1_21rocsparse_index_base_S4_S4_S6_S9_SA_S4_S4_S6_S9_SA_S9_PNS_15floating_traitsIS7_E6data_tEPKSD_: ; @_ZN9rocsparseL19kernel_nrm_residualILi1024ELi32EfiiEEvT3_T2_PKS2_S4_PKS1_PKT1_21rocsparse_index_base_S4_S4_S6_S9_SA_S4_S4_S6_S9_SA_S9_PNS_15floating_traitsIS7_E6data_tEPKSD_
; %bb.0:
	s_load_dword s7, s[4:5], 0x0
	v_lshrrev_b32_e32 v18, 5, v0
	s_lshl_b32 s34, s6, 10
	v_and_b32_e32 v19, 31, v0
	v_mov_b32_e32 v20, 0
	s_mov_b32 s6, exec_lo
	v_or_b32_e32 v1, s34, v18
	s_waitcnt lgkmcnt(0)
	v_cmpx_gt_i32_e64 s7, v1
	s_cbranch_execz .LBB12_40
; %bb.1:
	v_mov_b32_e32 v20, 0
	s_addk_i32 s34, 0x400
	s_mov_b32 s33, exec_lo
	v_cmpx_gt_u32_e64 s34, v1
	s_cbranch_execz .LBB12_39
; %bb.2:
	s_clause 0x6
	s_load_dword s35, s[4:5], 0x28
	s_load_dwordx8 s[8:15], s[4:5], 0x58
	s_load_dwordx8 s[16:23], s[4:5], 0x30
	;; [unrolled: 1-line block ×3, first 2 shown]
	s_load_dword s36, s[4:5], 0x50
	s_load_dwordx2 s[2:3], s[4:5], 0x80
	s_load_dword s37, s[4:5], 0x78
	v_mov_b32_e32 v3, 0
	v_mov_b32_e32 v20, 0
	s_mov_b32 s38, 0
	s_waitcnt lgkmcnt(0)
	v_subrev_nc_u32_e32 v21, s35, v19
	s_branch .LBB12_6
.LBB12_3:                               ;   in Loop: Header=BB12_6 Depth=1
	s_or_b32 exec_lo, exec_lo, s41
.LBB12_4:                               ;   in Loop: Header=BB12_6 Depth=1
	s_or_b32 exec_lo, exec_lo, s40
.LBB12_5:                               ;   in Loop: Header=BB12_6 Depth=1
	s_or_b32 exec_lo, exec_lo, s39
	v_add_nc_u32_e32 v1, 32, v1
	v_cmp_le_u32_e32 vcc_lo, s34, v1
	s_or_b32 s38, vcc_lo, s38
	s_andn2_b32 exec_lo, exec_lo, s38
	s_cbranch_execz .LBB12_38
.LBB12_6:                               ; =>This Loop Header: Depth=1
                                        ;     Child Loop BB12_10 Depth 2
                                        ;       Child Loop BB12_14 Depth 3
                                        ;       Child Loop BB12_24 Depth 3
	;; [unrolled: 1-line block ×3, first 2 shown]
	s_mov_b32 s39, exec_lo
	v_cmpx_gt_i32_e64 s7, v1
	s_cbranch_execz .LBB12_5
; %bb.7:                                ;   in Loop: Header=BB12_6 Depth=1
	v_ashrrev_i32_e32 v2, 31, v1
	s_mov_b32 s40, exec_lo
	v_lshlrev_b64 v[5:6], 2, v[1:2]
	v_add_co_u32 v7, vcc_lo, s24, v5
	v_add_co_ci_u32_e64 v8, null, s25, v6, vcc_lo
	v_add_co_u32 v9, vcc_lo, s26, v5
	v_add_co_ci_u32_e64 v10, null, s27, v6, vcc_lo
	global_load_dword v2, v[7:8], off
	global_load_dword v7, v[9:10], off
	s_waitcnt vmcnt(1)
	v_add_nc_u32_e32 v4, v21, v2
	s_waitcnt vmcnt(0)
	v_subrev_nc_u32_e32 v22, s35, v7
	v_cmpx_lt_i32_e64 v4, v22
	s_cbranch_execz .LBB12_4
; %bb.8:                                ;   in Loop: Header=BB12_6 Depth=1
	v_add_co_u32 v7, vcc_lo, s16, v5
	v_add_co_ci_u32_e64 v8, null, s17, v6, vcc_lo
	v_add_co_u32 v5, vcc_lo, s18, v5
	v_add_co_ci_u32_e64 v6, null, s19, v6, vcc_lo
	global_load_dword v2, v[7:8], off
	s_mov_b32 s41, 0
	global_load_dword v5, v[5:6], off
	s_waitcnt vmcnt(1)
	v_subrev_nc_u32_e32 v6, s36, v2
	s_waitcnt vmcnt(0)
	v_sub_nc_u32_e32 v23, v5, v2
	v_ashrrev_i32_e32 v7, 31, v6
	v_lshlrev_b64 v[7:8], 2, v[6:7]
	v_add_co_u32 v24, vcc_lo, s20, v7
	v_add_co_ci_u32_e64 v25, null, s21, v8, vcc_lo
	v_add_co_u32 v26, vcc_lo, s22, v7
	v_add_co_ci_u32_e64 v27, null, s23, v8, vcc_lo
	v_cmp_lt_i32_e32 vcc_lo, 0, v23
	s_branch .LBB12_10
.LBB12_9:                               ;   in Loop: Header=BB12_10 Depth=2
	s_or_b32 exec_lo, exec_lo, s1
	v_add_co_u32 v7, s0, s30, v7
	v_add_co_ci_u32_e64 v8, null, s31, v8, s0
	v_add_nc_u32_e32 v4, 32, v4
	global_load_dword v2, v[7:8], off
	v_cmp_ge_i32_e64 s0, v4, v22
	s_waitcnt vmcnt(0)
	v_sub_f32_e32 v2, v2, v5
	v_cmp_nlg_f32_e64 s1, 0x7f800000, |v2|
	v_cmp_gt_f32_e64 s42, v20, |v2|
	s_or_b32 s1, s1, s42
	s_or_b32 s41, s0, s41
	v_cndmask_b32_e64 v20, |v2|, v20, s1
	s_andn2_b32 exec_lo, exec_lo, s41
	s_cbranch_execz .LBB12_3
.LBB12_10:                              ;   Parent Loop BB12_6 Depth=1
                                        ; =>  This Loop Header: Depth=2
                                        ;       Child Loop BB12_14 Depth 3
                                        ;       Child Loop BB12_24 Depth 3
	;; [unrolled: 1-line block ×3, first 2 shown]
	v_ashrrev_i32_e32 v5, 31, v4
	v_lshlrev_b64 v[7:8], 2, v[4:5]
	v_mov_b32_e32 v5, 0
	v_add_co_u32 v9, s0, s28, v7
	v_add_co_ci_u32_e64 v10, null, s29, v8, s0
	global_load_dword v2, v[9:10], off
	s_waitcnt vmcnt(0)
	v_subrev_nc_u32_e32 v11, s35, v2
	v_ashrrev_i32_e32 v12, 31, v11
	v_lshlrev_b64 v[9:10], 2, v[11:12]
	v_add_co_u32 v12, s0, s8, v9
	v_add_co_ci_u32_e64 v13, null, s9, v10, s0
	v_add_co_u32 v14, s0, s10, v9
	v_add_co_ci_u32_e64 v15, null, s11, v10, s0
	global_load_dword v2, v[12:13], off
	global_load_dword v14, v[14:15], off
	v_mov_b32_e32 v13, 0
	s_waitcnt vmcnt(1)
	v_subrev_nc_u32_e32 v12, s37, v2
	s_waitcnt vmcnt(0)
	v_sub_nc_u32_e32 v28, v14, v2
	v_mov_b32_e32 v2, v13
	s_and_saveexec_b32 s42, vcc_lo
	s_cbranch_execz .LBB12_18
; %bb.11:                               ;   in Loop: Header=BB12_10 Depth=2
	v_ashrrev_i32_e32 v13, 31, v12
	v_mov_b32_e32 v5, 0
	v_mov_b32_e32 v2, 0
	s_mov_b32 s43, 0
                                        ; implicit-def: $sgpr44
	v_lshlrev_b64 v[13:14], 2, v[12:13]
	v_add_co_u32 v29, s0, s12, v13
	v_add_co_ci_u32_e64 v30, null, s13, v14, s0
	v_add_co_u32 v31, s0, s14, v13
	v_add_co_ci_u32_e64 v32, null, s15, v14, s0
	v_mov_b32_e32 v13, 0
	s_branch .LBB12_14
.LBB12_12:                              ;   in Loop: Header=BB12_14 Depth=3
	s_or_b32 exec_lo, exec_lo, s1
	v_cmp_le_i32_e64 s0, v33, v34
	v_cmp_ge_i32_e64 s1, v33, v34
	v_add_co_ci_u32_e64 v2, null, 0, v2, s0
	v_add_co_ci_u32_e64 v13, null, 0, v13, s1
	s_andn2_b32 s1, s44, exec_lo
	v_cmp_ge_i32_e64 s0, v2, v23
	s_and_b32 s0, s0, exec_lo
	s_or_b32 s44, s1, s0
.LBB12_13:                              ;   in Loop: Header=BB12_14 Depth=3
	s_or_b32 exec_lo, exec_lo, s45
	s_and_b32 s0, exec_lo, s44
	s_or_b32 s43, s0, s43
	s_andn2_b32 exec_lo, exec_lo, s43
	s_cbranch_execz .LBB12_17
.LBB12_14:                              ;   Parent Loop BB12_6 Depth=1
                                        ;     Parent Loop BB12_10 Depth=2
                                        ; =>    This Inner Loop Header: Depth=3
	s_or_b32 s44, s44, exec_lo
	s_mov_b32 s45, exec_lo
	v_cmpx_lt_i32_e64 v13, v28
	s_cbranch_execz .LBB12_13
; %bb.15:                               ;   in Loop: Header=BB12_14 Depth=3
	v_mov_b32_e32 v14, v3
	v_lshlrev_b64 v[16:17], 2, v[2:3]
	s_mov_b32 s1, exec_lo
	v_lshlrev_b64 v[14:15], 2, v[13:14]
	v_add_co_u32 v33, s0, v24, v16
	v_add_co_ci_u32_e64 v34, null, v25, v17, s0
	v_add_co_u32 v35, s0, v29, v14
	v_add_co_ci_u32_e64 v36, null, v30, v15, s0
	global_load_dword v33, v[33:34], off
	global_load_dword v34, v[35:36], off
	s_waitcnt vmcnt(1)
	v_subrev_nc_u32_e32 v33, s36, v33
	s_waitcnt vmcnt(0)
	v_subrev_nc_u32_e32 v34, s37, v34
	v_cmpx_eq_u32_e64 v33, v34
	s_cbranch_execz .LBB12_12
; %bb.16:                               ;   in Loop: Header=BB12_14 Depth=3
	v_add_co_u32 v16, s0, v26, v16
	v_add_co_ci_u32_e64 v17, null, v27, v17, s0
	v_add_co_u32 v14, s0, v31, v14
	v_add_co_ci_u32_e64 v15, null, v32, v15, s0
	global_load_dword v16, v[16:17], off
	global_load_dword v14, v[14:15], off
	s_waitcnt vmcnt(0)
	v_fmac_f32_e32 v5, v16, v14
	s_branch .LBB12_12
.LBB12_17:                              ;   in Loop: Header=BB12_10 Depth=2
	s_or_b32 exec_lo, exec_lo, s43
.LBB12_18:                              ;   in Loop: Header=BB12_10 Depth=2
	s_or_b32 exec_lo, exec_lo, s42
	s_mov_b32 s1, exec_lo
	v_cmpx_ge_i32_e64 v13, v28
	s_xor_b32 s1, exec_lo, s1
	s_cbranch_execnz .LBB12_21
; %bb.19:                               ;   in Loop: Header=BB12_10 Depth=2
	s_andn2_saveexec_b32 s1, s1
	s_cbranch_execnz .LBB12_30
.LBB12_20:                              ;   in Loop: Header=BB12_10 Depth=2
	s_or_b32 exec_lo, exec_lo, s1
	s_mov_b32 s1, exec_lo
	v_cmpx_eq_u32_e64 v1, v11
	s_cbranch_execz .LBB12_9
	s_branch .LBB12_37
.LBB12_21:                              ;   in Loop: Header=BB12_10 Depth=2
	s_mov_b32 s42, exec_lo
	v_cmpx_lt_i32_e64 v2, v23
	s_cbranch_execz .LBB12_29
; %bb.22:                               ;   in Loop: Header=BB12_10 Depth=2
	s_mov_b32 s43, 0
                                        ; implicit-def: $sgpr44
                                        ; implicit-def: $sgpr46
                                        ; implicit-def: $sgpr45
	s_inst_prefetch 0x1
	s_branch .LBB12_24
	.p2align	6
.LBB12_23:                              ;   in Loop: Header=BB12_24 Depth=3
	s_or_b32 exec_lo, exec_lo, s47
	s_and_b32 s0, exec_lo, s46
	s_or_b32 s43, s0, s43
	s_andn2_b32 s0, s44, exec_lo
	s_and_b32 s44, s45, exec_lo
	s_or_b32 s44, s0, s44
	s_andn2_b32 exec_lo, exec_lo, s43
	s_cbranch_execz .LBB12_26
.LBB12_24:                              ;   Parent Loop BB12_6 Depth=1
                                        ;     Parent Loop BB12_10 Depth=2
                                        ; =>    This Inner Loop Header: Depth=3
	v_add_nc_u32_e32 v12, v6, v2
	s_or_b32 s45, s45, exec_lo
	s_or_b32 s46, s46, exec_lo
	s_mov_b32 s47, exec_lo
	v_ashrrev_i32_e32 v13, 31, v12
	v_lshlrev_b64 v[12:13], 2, v[12:13]
	v_add_co_u32 v14, s0, s20, v12
	v_add_co_ci_u32_e64 v15, null, s21, v13, s0
	global_load_dword v14, v[14:15], off
	s_waitcnt vmcnt(0)
	v_subrev_nc_u32_e32 v14, s36, v14
	v_cmpx_ne_u32_e64 v14, v11
	s_cbranch_execz .LBB12_23
; %bb.25:                               ;   in Loop: Header=BB12_24 Depth=3
	v_add_nc_u32_e32 v2, 1, v2
	s_andn2_b32 s46, s46, exec_lo
	s_andn2_b32 s45, s45, exec_lo
	v_cmp_ge_i32_e64 s0, v2, v23
	s_and_b32 s0, s0, exec_lo
	s_or_b32 s46, s46, s0
	s_branch .LBB12_23
.LBB12_26:                              ;   in Loop: Header=BB12_10 Depth=2
	s_inst_prefetch 0x2
	s_or_b32 exec_lo, exec_lo, s43
	s_and_saveexec_b32 s0, s44
	s_xor_b32 s43, exec_lo, s0
	s_cbranch_execz .LBB12_28
; %bb.27:                               ;   in Loop: Header=BB12_10 Depth=2
	v_add_co_u32 v12, s0, s22, v12
	v_add_co_ci_u32_e64 v13, null, s23, v13, s0
	v_add_co_u32 v14, s0, s2, v9
	v_add_co_ci_u32_e64 v15, null, s3, v10, s0
	global_load_dword v2, v[12:13], off
	global_load_dword v12, v[14:15], off
	s_waitcnt vmcnt(0)
	v_fmac_f32_e32 v5, v2, v12
.LBB12_28:                              ;   in Loop: Header=BB12_10 Depth=2
	s_or_b32 exec_lo, exec_lo, s43
.LBB12_29:                              ;   in Loop: Header=BB12_10 Depth=2
	s_or_b32 exec_lo, exec_lo, s42
                                        ; implicit-def: $vgpr13
                                        ; implicit-def: $vgpr12
                                        ; implicit-def: $vgpr28
	s_andn2_saveexec_b32 s1, s1
	s_cbranch_execz .LBB12_20
.LBB12_30:                              ;   in Loop: Header=BB12_10 Depth=2
	s_mov_b32 s42, 0
                                        ; implicit-def: $sgpr43
                                        ; implicit-def: $sgpr45
                                        ; implicit-def: $sgpr44
	s_inst_prefetch 0x1
	s_branch .LBB12_32
	.p2align	6
.LBB12_31:                              ;   in Loop: Header=BB12_32 Depth=3
	s_or_b32 exec_lo, exec_lo, s46
	s_and_b32 s0, exec_lo, s45
	s_or_b32 s42, s0, s42
	s_andn2_b32 s0, s43, exec_lo
	s_and_b32 s43, s44, exec_lo
	s_or_b32 s43, s0, s43
	s_andn2_b32 exec_lo, exec_lo, s42
	s_cbranch_execz .LBB12_34
.LBB12_32:                              ;   Parent Loop BB12_6 Depth=1
                                        ;     Parent Loop BB12_10 Depth=2
                                        ; =>    This Inner Loop Header: Depth=3
	v_add_nc_u32_e32 v14, v12, v13
	s_or_b32 s44, s44, exec_lo
	s_or_b32 s45, s45, exec_lo
	s_mov_b32 s46, exec_lo
	v_ashrrev_i32_e32 v15, 31, v14
	v_lshlrev_b64 v[14:15], 2, v[14:15]
	v_add_co_u32 v16, s0, s12, v14
	v_add_co_ci_u32_e64 v17, null, s13, v15, s0
	global_load_dword v2, v[16:17], off
	s_waitcnt vmcnt(0)
	v_subrev_nc_u32_e32 v2, s37, v2
	v_cmpx_ne_u32_e64 v2, v1
	s_cbranch_execz .LBB12_31
; %bb.33:                               ;   in Loop: Header=BB12_32 Depth=3
	v_add_nc_u32_e32 v13, 1, v13
	s_andn2_b32 s45, s45, exec_lo
	s_andn2_b32 s44, s44, exec_lo
	v_cmp_ge_i32_e64 s0, v13, v28
	s_and_b32 s0, s0, exec_lo
	s_or_b32 s45, s45, s0
	s_branch .LBB12_31
.LBB12_34:                              ;   in Loop: Header=BB12_10 Depth=2
	s_inst_prefetch 0x2
	s_or_b32 exec_lo, exec_lo, s42
	s_and_saveexec_b32 s0, s43
	s_xor_b32 s42, exec_lo, s0
	s_cbranch_execz .LBB12_36
; %bb.35:                               ;   in Loop: Header=BB12_10 Depth=2
	v_add_co_u32 v12, s0, s14, v14
	v_add_co_ci_u32_e64 v13, null, s15, v15, s0
	global_load_dword v2, v[12:13], off
	s_waitcnt vmcnt(0)
	v_add_f32_e32 v5, v5, v2
.LBB12_36:                              ;   in Loop: Header=BB12_10 Depth=2
	s_or_b32 exec_lo, exec_lo, s42
	s_or_b32 exec_lo, exec_lo, s1
	s_mov_b32 s1, exec_lo
	v_cmpx_eq_u32_e64 v1, v11
	s_cbranch_execz .LBB12_9
.LBB12_37:                              ;   in Loop: Header=BB12_10 Depth=2
	v_add_co_u32 v9, s0, s2, v9
	v_add_co_ci_u32_e64 v10, null, s3, v10, s0
	global_load_dword v2, v[9:10], off
	s_waitcnt vmcnt(0)
	v_add_f32_e32 v5, v5, v2
	s_branch .LBB12_9
.LBB12_38:
	s_or_b32 exec_lo, exec_lo, s38
.LBB12_39:
	s_or_b32 exec_lo, exec_lo, s33
.LBB12_40:
	s_or_b32 exec_lo, exec_lo, s6
	v_mbcnt_lo_u32_b32 v1, -1, 0
	s_mov_b32 s0, exec_lo
	v_xor_b32_e32 v2, 16, v1
	v_xor_b32_e32 v3, 8, v1
	v_xor_b32_e32 v4, 4, v1
	v_cmp_gt_i32_e32 vcc_lo, 32, v2
	v_cndmask_b32_e32 v2, v1, v2, vcc_lo
	v_cmp_gt_i32_e32 vcc_lo, 32, v3
	v_lshlrev_b32_e32 v2, 2, v2
	v_cndmask_b32_e32 v3, v1, v3, vcc_lo
	ds_bpermute_b32 v2, v2, v20
	v_lshlrev_b32_e32 v3, 2, v3
	s_waitcnt lgkmcnt(0)
	v_cmp_lt_f32_e32 vcc_lo, v20, v2
	v_cndmask_b32_e32 v2, v20, v2, vcc_lo
	v_cmp_gt_i32_e32 vcc_lo, 32, v4
	ds_bpermute_b32 v3, v3, v2
	v_cndmask_b32_e32 v4, v1, v4, vcc_lo
	v_lshlrev_b32_e32 v4, 2, v4
	s_waitcnt lgkmcnt(0)
	v_cmp_lt_f32_e32 vcc_lo, v2, v3
	v_cndmask_b32_e32 v2, v2, v3, vcc_lo
	ds_bpermute_b32 v3, v4, v2
	v_xor_b32_e32 v4, 2, v1
	v_cmp_gt_i32_e32 vcc_lo, 32, v4
	v_cndmask_b32_e32 v4, v1, v4, vcc_lo
	v_lshlrev_b32_e32 v4, 2, v4
	s_waitcnt lgkmcnt(0)
	v_cmp_lt_f32_e32 vcc_lo, v2, v3
	v_cndmask_b32_e32 v2, v2, v3, vcc_lo
	ds_bpermute_b32 v3, v4, v2
	v_xor_b32_e32 v4, 1, v1
	v_cmp_gt_i32_e32 vcc_lo, 32, v4
	v_cndmask_b32_e32 v4, v1, v4, vcc_lo
	s_waitcnt lgkmcnt(0)
	v_cmp_lt_f32_e32 vcc_lo, v2, v3
	v_cndmask_b32_e32 v1, v2, v3, vcc_lo
	v_lshlrev_b32_e32 v2, 2, v4
	ds_bpermute_b32 v2, v2, v1
	v_cmpx_eq_u32_e32 31, v19
	s_cbranch_execz .LBB12_42
; %bb.41:
	s_waitcnt lgkmcnt(0)
	v_cmp_lt_f32_e32 vcc_lo, v1, v2
	v_lshlrev_b32_e32 v3, 2, v18
	v_cndmask_b32_e32 v1, v1, v2, vcc_lo
	ds_write_b32 v3, v1
.LBB12_42:
	s_or_b32 exec_lo, exec_lo, s0
	v_lshlrev_b32_e32 v1, 2, v0
	s_mov_b32 s0, exec_lo
	s_waitcnt lgkmcnt(0)
	s_barrier
	buffer_gl0_inv
	v_cmpx_gt_u32_e32 16, v0
	s_cbranch_execz .LBB12_44
; %bb.43:
	ds_read2_b32 v[2:3], v1 offset1:16
	s_waitcnt lgkmcnt(0)
	v_cmp_lt_f32_e32 vcc_lo, v2, v3
	v_cndmask_b32_e32 v2, v2, v3, vcc_lo
	ds_write_b32 v1, v2
.LBB12_44:
	s_or_b32 exec_lo, exec_lo, s0
	s_mov_b32 s0, exec_lo
	s_waitcnt lgkmcnt(0)
	s_barrier
	buffer_gl0_inv
	v_cmpx_gt_u32_e32 8, v0
	s_cbranch_execz .LBB12_46
; %bb.45:
	ds_read2_b32 v[2:3], v1 offset1:8
	s_waitcnt lgkmcnt(0)
	v_cmp_lt_f32_e32 vcc_lo, v2, v3
	v_cndmask_b32_e32 v2, v2, v3, vcc_lo
	ds_write_b32 v1, v2
.LBB12_46:
	s_or_b32 exec_lo, exec_lo, s0
	;; [unrolled: 14-line block ×4, first 2 shown]
	v_cmp_eq_u32_e32 vcc_lo, 0, v0
	s_waitcnt lgkmcnt(0)
	s_barrier
	buffer_gl0_inv
	s_and_saveexec_b32 s1, vcc_lo
	s_cbranch_execz .LBB12_52
; %bb.51:
	v_mov_b32_e32 v2, 0
	ds_read_b64 v[0:1], v2
	s_waitcnt lgkmcnt(0)
	v_cmp_lt_f32_e64 s0, v0, v1
	v_cndmask_b32_e64 v0, v0, v1, s0
	ds_write_b32 v2, v0
.LBB12_52:
	s_or_b32 exec_lo, exec_lo, s1
	s_waitcnt lgkmcnt(0)
	s_barrier
	buffer_gl0_inv
	s_and_saveexec_b32 s0, vcc_lo
	s_cbranch_execz .LBB12_56
; %bb.53:
	v_mbcnt_lo_u32_b32 v0, exec_lo, 0
	s_mov_b32 s6, 0
	v_cmp_eq_u32_e32 vcc_lo, 0, v0
	s_and_b32 exec_lo, exec_lo, vcc_lo
	s_cbranch_execz .LBB12_56
; %bb.54:
	s_load_dwordx4 s[0:3], s[4:5], 0x88
	v_mov_b32_e32 v2, 0
	ds_read_b32 v0, v2
	s_waitcnt lgkmcnt(0)
	s_load_dword s2, s[2:3], 0x0
	s_load_dword s3, s[0:1], 0x0
	s_waitcnt lgkmcnt(0)
	v_div_scale_f32 v1, null, s2, s2, v0
	v_rcp_f32_e32 v3, v1
	v_fma_f32 v4, -v1, v3, 1.0
	v_fmac_f32_e32 v3, v4, v3
	v_div_scale_f32 v4, vcc_lo, v0, s2, v0
	v_mul_f32_e32 v5, v4, v3
	v_fma_f32 v6, -v1, v5, v4
	v_fmac_f32_e32 v5, v6, v3
	v_fma_f32 v1, -v1, v5, v4
	v_div_fmas_f32 v1, v1, v3, v5
	v_div_fixup_f32 v0, v1, s2, v0
	v_mov_b32_e32 v1, s3
	v_max_f32_e32 v3, v0, v0
.LBB12_55:                              ; =>This Inner Loop Header: Depth=1
	v_max_f32_e32 v0, v1, v1
	v_max_f32_e32 v0, v0, v3
	global_atomic_cmpswap v0, v2, v[0:1], s[0:1] glc
	s_waitcnt vmcnt(0)
	v_cmp_eq_u32_e32 vcc_lo, v0, v1
	v_mov_b32_e32 v1, v0
	s_or_b32 s6, vcc_lo, s6
	s_andn2_b32 exec_lo, exec_lo, s6
	s_cbranch_execnz .LBB12_55
.LBB12_56:
	s_endpgm
	.section	.rodata,"a",@progbits
	.p2align	6, 0x0
	.amdhsa_kernel _ZN9rocsparseL19kernel_nrm_residualILi1024ELi32EfiiEEvT3_T2_PKS2_S4_PKS1_PKT1_21rocsparse_index_base_S4_S4_S6_S9_SA_S4_S4_S6_S9_SA_S9_PNS_15floating_traitsIS7_E6data_tEPKSD_
		.amdhsa_group_segment_fixed_size 128
		.amdhsa_private_segment_fixed_size 0
		.amdhsa_kernarg_size 152
		.amdhsa_user_sgpr_count 6
		.amdhsa_user_sgpr_private_segment_buffer 1
		.amdhsa_user_sgpr_dispatch_ptr 0
		.amdhsa_user_sgpr_queue_ptr 0
		.amdhsa_user_sgpr_kernarg_segment_ptr 1
		.amdhsa_user_sgpr_dispatch_id 0
		.amdhsa_user_sgpr_flat_scratch_init 0
		.amdhsa_user_sgpr_private_segment_size 0
		.amdhsa_wavefront_size32 1
		.amdhsa_uses_dynamic_stack 0
		.amdhsa_system_sgpr_private_segment_wavefront_offset 0
		.amdhsa_system_sgpr_workgroup_id_x 1
		.amdhsa_system_sgpr_workgroup_id_y 0
		.amdhsa_system_sgpr_workgroup_id_z 0
		.amdhsa_system_sgpr_workgroup_info 0
		.amdhsa_system_vgpr_workitem_id 0
		.amdhsa_next_free_vgpr 37
		.amdhsa_next_free_sgpr 48
		.amdhsa_reserve_vcc 1
		.amdhsa_reserve_flat_scratch 0
		.amdhsa_float_round_mode_32 0
		.amdhsa_float_round_mode_16_64 0
		.amdhsa_float_denorm_mode_32 3
		.amdhsa_float_denorm_mode_16_64 3
		.amdhsa_dx10_clamp 1
		.amdhsa_ieee_mode 1
		.amdhsa_fp16_overflow 0
		.amdhsa_workgroup_processor_mode 1
		.amdhsa_memory_ordered 1
		.amdhsa_forward_progress 1
		.amdhsa_shared_vgpr_count 0
		.amdhsa_exception_fp_ieee_invalid_op 0
		.amdhsa_exception_fp_denorm_src 0
		.amdhsa_exception_fp_ieee_div_zero 0
		.amdhsa_exception_fp_ieee_overflow 0
		.amdhsa_exception_fp_ieee_underflow 0
		.amdhsa_exception_fp_ieee_inexact 0
		.amdhsa_exception_int_div_zero 0
	.end_amdhsa_kernel
	.section	.text._ZN9rocsparseL19kernel_nrm_residualILi1024ELi32EfiiEEvT3_T2_PKS2_S4_PKS1_PKT1_21rocsparse_index_base_S4_S4_S6_S9_SA_S4_S4_S6_S9_SA_S9_PNS_15floating_traitsIS7_E6data_tEPKSD_,"axG",@progbits,_ZN9rocsparseL19kernel_nrm_residualILi1024ELi32EfiiEEvT3_T2_PKS2_S4_PKS1_PKT1_21rocsparse_index_base_S4_S4_S6_S9_SA_S4_S4_S6_S9_SA_S9_PNS_15floating_traitsIS7_E6data_tEPKSD_,comdat
.Lfunc_end12:
	.size	_ZN9rocsparseL19kernel_nrm_residualILi1024ELi32EfiiEEvT3_T2_PKS2_S4_PKS1_PKT1_21rocsparse_index_base_S4_S4_S6_S9_SA_S4_S4_S6_S9_SA_S9_PNS_15floating_traitsIS7_E6data_tEPKSD_, .Lfunc_end12-_ZN9rocsparseL19kernel_nrm_residualILi1024ELi32EfiiEEvT3_T2_PKS2_S4_PKS1_PKT1_21rocsparse_index_base_S4_S4_S6_S9_SA_S4_S4_S6_S9_SA_S9_PNS_15floating_traitsIS7_E6data_tEPKSD_
                                        ; -- End function
	.set _ZN9rocsparseL19kernel_nrm_residualILi1024ELi32EfiiEEvT3_T2_PKS2_S4_PKS1_PKT1_21rocsparse_index_base_S4_S4_S6_S9_SA_S4_S4_S6_S9_SA_S9_PNS_15floating_traitsIS7_E6data_tEPKSD_.num_vgpr, 37
	.set _ZN9rocsparseL19kernel_nrm_residualILi1024ELi32EfiiEEvT3_T2_PKS2_S4_PKS1_PKT1_21rocsparse_index_base_S4_S4_S6_S9_SA_S4_S4_S6_S9_SA_S9_PNS_15floating_traitsIS7_E6data_tEPKSD_.num_agpr, 0
	.set _ZN9rocsparseL19kernel_nrm_residualILi1024ELi32EfiiEEvT3_T2_PKS2_S4_PKS1_PKT1_21rocsparse_index_base_S4_S4_S6_S9_SA_S4_S4_S6_S9_SA_S9_PNS_15floating_traitsIS7_E6data_tEPKSD_.numbered_sgpr, 48
	.set _ZN9rocsparseL19kernel_nrm_residualILi1024ELi32EfiiEEvT3_T2_PKS2_S4_PKS1_PKT1_21rocsparse_index_base_S4_S4_S6_S9_SA_S4_S4_S6_S9_SA_S9_PNS_15floating_traitsIS7_E6data_tEPKSD_.num_named_barrier, 0
	.set _ZN9rocsparseL19kernel_nrm_residualILi1024ELi32EfiiEEvT3_T2_PKS2_S4_PKS1_PKT1_21rocsparse_index_base_S4_S4_S6_S9_SA_S4_S4_S6_S9_SA_S9_PNS_15floating_traitsIS7_E6data_tEPKSD_.private_seg_size, 0
	.set _ZN9rocsparseL19kernel_nrm_residualILi1024ELi32EfiiEEvT3_T2_PKS2_S4_PKS1_PKT1_21rocsparse_index_base_S4_S4_S6_S9_SA_S4_S4_S6_S9_SA_S9_PNS_15floating_traitsIS7_E6data_tEPKSD_.uses_vcc, 1
	.set _ZN9rocsparseL19kernel_nrm_residualILi1024ELi32EfiiEEvT3_T2_PKS2_S4_PKS1_PKT1_21rocsparse_index_base_S4_S4_S6_S9_SA_S4_S4_S6_S9_SA_S9_PNS_15floating_traitsIS7_E6data_tEPKSD_.uses_flat_scratch, 0
	.set _ZN9rocsparseL19kernel_nrm_residualILi1024ELi32EfiiEEvT3_T2_PKS2_S4_PKS1_PKT1_21rocsparse_index_base_S4_S4_S6_S9_SA_S4_S4_S6_S9_SA_S9_PNS_15floating_traitsIS7_E6data_tEPKSD_.has_dyn_sized_stack, 0
	.set _ZN9rocsparseL19kernel_nrm_residualILi1024ELi32EfiiEEvT3_T2_PKS2_S4_PKS1_PKT1_21rocsparse_index_base_S4_S4_S6_S9_SA_S4_S4_S6_S9_SA_S9_PNS_15floating_traitsIS7_E6data_tEPKSD_.has_recursion, 0
	.set _ZN9rocsparseL19kernel_nrm_residualILi1024ELi32EfiiEEvT3_T2_PKS2_S4_PKS1_PKT1_21rocsparse_index_base_S4_S4_S6_S9_SA_S4_S4_S6_S9_SA_S9_PNS_15floating_traitsIS7_E6data_tEPKSD_.has_indirect_call, 0
	.section	.AMDGPU.csdata,"",@progbits
; Kernel info:
; codeLenInByte = 2352
; TotalNumSgprs: 50
; NumVgprs: 37
; ScratchSize: 0
; MemoryBound: 0
; FloatMode: 240
; IeeeMode: 1
; LDSByteSize: 128 bytes/workgroup (compile time only)
; SGPRBlocks: 0
; VGPRBlocks: 4
; NumSGPRsForWavesPerEU: 50
; NumVGPRsForWavesPerEU: 37
; Occupancy: 16
; WaveLimiterHint : 1
; COMPUTE_PGM_RSRC2:SCRATCH_EN: 0
; COMPUTE_PGM_RSRC2:USER_SGPR: 6
; COMPUTE_PGM_RSRC2:TRAP_HANDLER: 0
; COMPUTE_PGM_RSRC2:TGID_X_EN: 1
; COMPUTE_PGM_RSRC2:TGID_Y_EN: 0
; COMPUTE_PGM_RSRC2:TGID_Z_EN: 0
; COMPUTE_PGM_RSRC2:TIDIG_COMP_CNT: 0
	.section	.text._ZN9rocsparseL19kernel_nrm_residualILi1024ELi64EfiiEEvT3_T2_PKS2_S4_PKS1_PKT1_21rocsparse_index_base_S4_S4_S6_S9_SA_S4_S4_S6_S9_SA_S9_PNS_15floating_traitsIS7_E6data_tEPKSD_,"axG",@progbits,_ZN9rocsparseL19kernel_nrm_residualILi1024ELi64EfiiEEvT3_T2_PKS2_S4_PKS1_PKT1_21rocsparse_index_base_S4_S4_S6_S9_SA_S4_S4_S6_S9_SA_S9_PNS_15floating_traitsIS7_E6data_tEPKSD_,comdat
	.globl	_ZN9rocsparseL19kernel_nrm_residualILi1024ELi64EfiiEEvT3_T2_PKS2_S4_PKS1_PKT1_21rocsparse_index_base_S4_S4_S6_S9_SA_S4_S4_S6_S9_SA_S9_PNS_15floating_traitsIS7_E6data_tEPKSD_ ; -- Begin function _ZN9rocsparseL19kernel_nrm_residualILi1024ELi64EfiiEEvT3_T2_PKS2_S4_PKS1_PKT1_21rocsparse_index_base_S4_S4_S6_S9_SA_S4_S4_S6_S9_SA_S9_PNS_15floating_traitsIS7_E6data_tEPKSD_
	.p2align	8
	.type	_ZN9rocsparseL19kernel_nrm_residualILi1024ELi64EfiiEEvT3_T2_PKS2_S4_PKS1_PKT1_21rocsparse_index_base_S4_S4_S6_S9_SA_S4_S4_S6_S9_SA_S9_PNS_15floating_traitsIS7_E6data_tEPKSD_,@function
_ZN9rocsparseL19kernel_nrm_residualILi1024ELi64EfiiEEvT3_T2_PKS2_S4_PKS1_PKT1_21rocsparse_index_base_S4_S4_S6_S9_SA_S4_S4_S6_S9_SA_S9_PNS_15floating_traitsIS7_E6data_tEPKSD_: ; @_ZN9rocsparseL19kernel_nrm_residualILi1024ELi64EfiiEEvT3_T2_PKS2_S4_PKS1_PKT1_21rocsparse_index_base_S4_S4_S6_S9_SA_S4_S4_S6_S9_SA_S9_PNS_15floating_traitsIS7_E6data_tEPKSD_
; %bb.0:
	s_load_dword s7, s[4:5], 0x0
	v_lshrrev_b32_e32 v18, 6, v0
	s_lshl_b32 s34, s6, 10
	v_and_b32_e32 v19, 63, v0
	v_mov_b32_e32 v20, 0
	s_mov_b32 s6, exec_lo
	v_or_b32_e32 v1, s34, v18
	s_waitcnt lgkmcnt(0)
	v_cmpx_gt_i32_e64 s7, v1
	s_cbranch_execz .LBB13_40
; %bb.1:
	v_mov_b32_e32 v20, 0
	s_addk_i32 s34, 0x400
	s_mov_b32 s33, exec_lo
	v_cmpx_gt_u32_e64 s34, v1
	s_cbranch_execz .LBB13_39
; %bb.2:
	s_clause 0x6
	s_load_dword s35, s[4:5], 0x28
	s_load_dwordx8 s[8:15], s[4:5], 0x58
	s_load_dwordx8 s[16:23], s[4:5], 0x30
	s_load_dwordx8 s[24:31], s[4:5], 0x8
	s_load_dword s36, s[4:5], 0x50
	s_load_dwordx2 s[2:3], s[4:5], 0x80
	s_load_dword s37, s[4:5], 0x78
	v_mov_b32_e32 v3, 0
	v_mov_b32_e32 v20, 0
	s_mov_b32 s38, 0
	s_waitcnt lgkmcnt(0)
	v_subrev_nc_u32_e32 v21, s35, v19
	s_branch .LBB13_6
.LBB13_3:                               ;   in Loop: Header=BB13_6 Depth=1
	s_or_b32 exec_lo, exec_lo, s41
.LBB13_4:                               ;   in Loop: Header=BB13_6 Depth=1
	s_or_b32 exec_lo, exec_lo, s40
.LBB13_5:                               ;   in Loop: Header=BB13_6 Depth=1
	s_or_b32 exec_lo, exec_lo, s39
	v_add_nc_u32_e32 v1, 16, v1
	v_cmp_le_u32_e32 vcc_lo, s34, v1
	s_or_b32 s38, vcc_lo, s38
	s_andn2_b32 exec_lo, exec_lo, s38
	s_cbranch_execz .LBB13_38
.LBB13_6:                               ; =>This Loop Header: Depth=1
                                        ;     Child Loop BB13_10 Depth 2
                                        ;       Child Loop BB13_14 Depth 3
                                        ;       Child Loop BB13_24 Depth 3
	;; [unrolled: 1-line block ×3, first 2 shown]
	s_mov_b32 s39, exec_lo
	v_cmpx_gt_i32_e64 s7, v1
	s_cbranch_execz .LBB13_5
; %bb.7:                                ;   in Loop: Header=BB13_6 Depth=1
	v_ashrrev_i32_e32 v2, 31, v1
	s_mov_b32 s40, exec_lo
	v_lshlrev_b64 v[5:6], 2, v[1:2]
	v_add_co_u32 v7, vcc_lo, s24, v5
	v_add_co_ci_u32_e64 v8, null, s25, v6, vcc_lo
	v_add_co_u32 v9, vcc_lo, s26, v5
	v_add_co_ci_u32_e64 v10, null, s27, v6, vcc_lo
	global_load_dword v2, v[7:8], off
	global_load_dword v7, v[9:10], off
	s_waitcnt vmcnt(1)
	v_add_nc_u32_e32 v4, v21, v2
	s_waitcnt vmcnt(0)
	v_subrev_nc_u32_e32 v22, s35, v7
	v_cmpx_lt_i32_e64 v4, v22
	s_cbranch_execz .LBB13_4
; %bb.8:                                ;   in Loop: Header=BB13_6 Depth=1
	v_add_co_u32 v7, vcc_lo, s16, v5
	v_add_co_ci_u32_e64 v8, null, s17, v6, vcc_lo
	v_add_co_u32 v5, vcc_lo, s18, v5
	v_add_co_ci_u32_e64 v6, null, s19, v6, vcc_lo
	global_load_dword v2, v[7:8], off
	s_mov_b32 s41, 0
	global_load_dword v5, v[5:6], off
	s_waitcnt vmcnt(1)
	v_subrev_nc_u32_e32 v6, s36, v2
	s_waitcnt vmcnt(0)
	v_sub_nc_u32_e32 v23, v5, v2
	v_ashrrev_i32_e32 v7, 31, v6
	v_lshlrev_b64 v[7:8], 2, v[6:7]
	v_add_co_u32 v24, vcc_lo, s20, v7
	v_add_co_ci_u32_e64 v25, null, s21, v8, vcc_lo
	v_add_co_u32 v26, vcc_lo, s22, v7
	v_add_co_ci_u32_e64 v27, null, s23, v8, vcc_lo
	v_cmp_lt_i32_e32 vcc_lo, 0, v23
	s_branch .LBB13_10
.LBB13_9:                               ;   in Loop: Header=BB13_10 Depth=2
	s_or_b32 exec_lo, exec_lo, s1
	v_add_co_u32 v7, s0, s30, v7
	v_add_co_ci_u32_e64 v8, null, s31, v8, s0
	v_add_nc_u32_e32 v4, 64, v4
	global_load_dword v2, v[7:8], off
	v_cmp_ge_i32_e64 s0, v4, v22
	s_waitcnt vmcnt(0)
	v_sub_f32_e32 v2, v2, v5
	v_cmp_nlg_f32_e64 s1, 0x7f800000, |v2|
	v_cmp_gt_f32_e64 s42, v20, |v2|
	s_or_b32 s1, s1, s42
	s_or_b32 s41, s0, s41
	v_cndmask_b32_e64 v20, |v2|, v20, s1
	s_andn2_b32 exec_lo, exec_lo, s41
	s_cbranch_execz .LBB13_3
.LBB13_10:                              ;   Parent Loop BB13_6 Depth=1
                                        ; =>  This Loop Header: Depth=2
                                        ;       Child Loop BB13_14 Depth 3
                                        ;       Child Loop BB13_24 Depth 3
                                        ;       Child Loop BB13_32 Depth 3
	v_ashrrev_i32_e32 v5, 31, v4
	v_lshlrev_b64 v[7:8], 2, v[4:5]
	v_mov_b32_e32 v5, 0
	v_add_co_u32 v9, s0, s28, v7
	v_add_co_ci_u32_e64 v10, null, s29, v8, s0
	global_load_dword v2, v[9:10], off
	s_waitcnt vmcnt(0)
	v_subrev_nc_u32_e32 v11, s35, v2
	v_ashrrev_i32_e32 v12, 31, v11
	v_lshlrev_b64 v[9:10], 2, v[11:12]
	v_add_co_u32 v12, s0, s8, v9
	v_add_co_ci_u32_e64 v13, null, s9, v10, s0
	v_add_co_u32 v14, s0, s10, v9
	v_add_co_ci_u32_e64 v15, null, s11, v10, s0
	global_load_dword v2, v[12:13], off
	global_load_dword v14, v[14:15], off
	v_mov_b32_e32 v13, 0
	s_waitcnt vmcnt(1)
	v_subrev_nc_u32_e32 v12, s37, v2
	s_waitcnt vmcnt(0)
	v_sub_nc_u32_e32 v28, v14, v2
	v_mov_b32_e32 v2, v13
	s_and_saveexec_b32 s42, vcc_lo
	s_cbranch_execz .LBB13_18
; %bb.11:                               ;   in Loop: Header=BB13_10 Depth=2
	v_ashrrev_i32_e32 v13, 31, v12
	v_mov_b32_e32 v5, 0
	v_mov_b32_e32 v2, 0
	s_mov_b32 s43, 0
                                        ; implicit-def: $sgpr44
	v_lshlrev_b64 v[13:14], 2, v[12:13]
	v_add_co_u32 v29, s0, s12, v13
	v_add_co_ci_u32_e64 v30, null, s13, v14, s0
	v_add_co_u32 v31, s0, s14, v13
	v_add_co_ci_u32_e64 v32, null, s15, v14, s0
	v_mov_b32_e32 v13, 0
	s_branch .LBB13_14
.LBB13_12:                              ;   in Loop: Header=BB13_14 Depth=3
	s_or_b32 exec_lo, exec_lo, s1
	v_cmp_le_i32_e64 s0, v33, v34
	v_cmp_ge_i32_e64 s1, v33, v34
	v_add_co_ci_u32_e64 v2, null, 0, v2, s0
	v_add_co_ci_u32_e64 v13, null, 0, v13, s1
	s_andn2_b32 s1, s44, exec_lo
	v_cmp_ge_i32_e64 s0, v2, v23
	s_and_b32 s0, s0, exec_lo
	s_or_b32 s44, s1, s0
.LBB13_13:                              ;   in Loop: Header=BB13_14 Depth=3
	s_or_b32 exec_lo, exec_lo, s45
	s_and_b32 s0, exec_lo, s44
	s_or_b32 s43, s0, s43
	s_andn2_b32 exec_lo, exec_lo, s43
	s_cbranch_execz .LBB13_17
.LBB13_14:                              ;   Parent Loop BB13_6 Depth=1
                                        ;     Parent Loop BB13_10 Depth=2
                                        ; =>    This Inner Loop Header: Depth=3
	s_or_b32 s44, s44, exec_lo
	s_mov_b32 s45, exec_lo
	v_cmpx_lt_i32_e64 v13, v28
	s_cbranch_execz .LBB13_13
; %bb.15:                               ;   in Loop: Header=BB13_14 Depth=3
	v_mov_b32_e32 v14, v3
	v_lshlrev_b64 v[16:17], 2, v[2:3]
	s_mov_b32 s1, exec_lo
	v_lshlrev_b64 v[14:15], 2, v[13:14]
	v_add_co_u32 v33, s0, v24, v16
	v_add_co_ci_u32_e64 v34, null, v25, v17, s0
	v_add_co_u32 v35, s0, v29, v14
	v_add_co_ci_u32_e64 v36, null, v30, v15, s0
	global_load_dword v33, v[33:34], off
	global_load_dword v34, v[35:36], off
	s_waitcnt vmcnt(1)
	v_subrev_nc_u32_e32 v33, s36, v33
	s_waitcnt vmcnt(0)
	v_subrev_nc_u32_e32 v34, s37, v34
	v_cmpx_eq_u32_e64 v33, v34
	s_cbranch_execz .LBB13_12
; %bb.16:                               ;   in Loop: Header=BB13_14 Depth=3
	v_add_co_u32 v16, s0, v26, v16
	v_add_co_ci_u32_e64 v17, null, v27, v17, s0
	v_add_co_u32 v14, s0, v31, v14
	v_add_co_ci_u32_e64 v15, null, v32, v15, s0
	global_load_dword v16, v[16:17], off
	global_load_dword v14, v[14:15], off
	s_waitcnt vmcnt(0)
	v_fmac_f32_e32 v5, v16, v14
	s_branch .LBB13_12
.LBB13_17:                              ;   in Loop: Header=BB13_10 Depth=2
	s_or_b32 exec_lo, exec_lo, s43
.LBB13_18:                              ;   in Loop: Header=BB13_10 Depth=2
	s_or_b32 exec_lo, exec_lo, s42
	s_mov_b32 s1, exec_lo
	v_cmpx_ge_i32_e64 v13, v28
	s_xor_b32 s1, exec_lo, s1
	s_cbranch_execnz .LBB13_21
; %bb.19:                               ;   in Loop: Header=BB13_10 Depth=2
	s_andn2_saveexec_b32 s1, s1
	s_cbranch_execnz .LBB13_30
.LBB13_20:                              ;   in Loop: Header=BB13_10 Depth=2
	s_or_b32 exec_lo, exec_lo, s1
	s_mov_b32 s1, exec_lo
	v_cmpx_eq_u32_e64 v1, v11
	s_cbranch_execz .LBB13_9
	s_branch .LBB13_37
.LBB13_21:                              ;   in Loop: Header=BB13_10 Depth=2
	s_mov_b32 s42, exec_lo
	v_cmpx_lt_i32_e64 v2, v23
	s_cbranch_execz .LBB13_29
; %bb.22:                               ;   in Loop: Header=BB13_10 Depth=2
	s_mov_b32 s43, 0
                                        ; implicit-def: $sgpr44
                                        ; implicit-def: $sgpr46
                                        ; implicit-def: $sgpr45
	s_inst_prefetch 0x1
	s_branch .LBB13_24
	.p2align	6
.LBB13_23:                              ;   in Loop: Header=BB13_24 Depth=3
	s_or_b32 exec_lo, exec_lo, s47
	s_and_b32 s0, exec_lo, s46
	s_or_b32 s43, s0, s43
	s_andn2_b32 s0, s44, exec_lo
	s_and_b32 s44, s45, exec_lo
	s_or_b32 s44, s0, s44
	s_andn2_b32 exec_lo, exec_lo, s43
	s_cbranch_execz .LBB13_26
.LBB13_24:                              ;   Parent Loop BB13_6 Depth=1
                                        ;     Parent Loop BB13_10 Depth=2
                                        ; =>    This Inner Loop Header: Depth=3
	v_add_nc_u32_e32 v12, v6, v2
	s_or_b32 s45, s45, exec_lo
	s_or_b32 s46, s46, exec_lo
	s_mov_b32 s47, exec_lo
	v_ashrrev_i32_e32 v13, 31, v12
	v_lshlrev_b64 v[12:13], 2, v[12:13]
	v_add_co_u32 v14, s0, s20, v12
	v_add_co_ci_u32_e64 v15, null, s21, v13, s0
	global_load_dword v14, v[14:15], off
	s_waitcnt vmcnt(0)
	v_subrev_nc_u32_e32 v14, s36, v14
	v_cmpx_ne_u32_e64 v14, v11
	s_cbranch_execz .LBB13_23
; %bb.25:                               ;   in Loop: Header=BB13_24 Depth=3
	v_add_nc_u32_e32 v2, 1, v2
	s_andn2_b32 s46, s46, exec_lo
	s_andn2_b32 s45, s45, exec_lo
	v_cmp_ge_i32_e64 s0, v2, v23
	s_and_b32 s0, s0, exec_lo
	s_or_b32 s46, s46, s0
	s_branch .LBB13_23
.LBB13_26:                              ;   in Loop: Header=BB13_10 Depth=2
	s_inst_prefetch 0x2
	s_or_b32 exec_lo, exec_lo, s43
	s_and_saveexec_b32 s0, s44
	s_xor_b32 s43, exec_lo, s0
	s_cbranch_execz .LBB13_28
; %bb.27:                               ;   in Loop: Header=BB13_10 Depth=2
	v_add_co_u32 v12, s0, s22, v12
	v_add_co_ci_u32_e64 v13, null, s23, v13, s0
	v_add_co_u32 v14, s0, s2, v9
	v_add_co_ci_u32_e64 v15, null, s3, v10, s0
	global_load_dword v2, v[12:13], off
	global_load_dword v12, v[14:15], off
	s_waitcnt vmcnt(0)
	v_fmac_f32_e32 v5, v2, v12
.LBB13_28:                              ;   in Loop: Header=BB13_10 Depth=2
	s_or_b32 exec_lo, exec_lo, s43
.LBB13_29:                              ;   in Loop: Header=BB13_10 Depth=2
	s_or_b32 exec_lo, exec_lo, s42
                                        ; implicit-def: $vgpr13
                                        ; implicit-def: $vgpr12
                                        ; implicit-def: $vgpr28
	s_andn2_saveexec_b32 s1, s1
	s_cbranch_execz .LBB13_20
.LBB13_30:                              ;   in Loop: Header=BB13_10 Depth=2
	s_mov_b32 s42, 0
                                        ; implicit-def: $sgpr43
                                        ; implicit-def: $sgpr45
                                        ; implicit-def: $sgpr44
	s_inst_prefetch 0x1
	s_branch .LBB13_32
	.p2align	6
.LBB13_31:                              ;   in Loop: Header=BB13_32 Depth=3
	s_or_b32 exec_lo, exec_lo, s46
	s_and_b32 s0, exec_lo, s45
	s_or_b32 s42, s0, s42
	s_andn2_b32 s0, s43, exec_lo
	s_and_b32 s43, s44, exec_lo
	s_or_b32 s43, s0, s43
	s_andn2_b32 exec_lo, exec_lo, s42
	s_cbranch_execz .LBB13_34
.LBB13_32:                              ;   Parent Loop BB13_6 Depth=1
                                        ;     Parent Loop BB13_10 Depth=2
                                        ; =>    This Inner Loop Header: Depth=3
	v_add_nc_u32_e32 v14, v12, v13
	s_or_b32 s44, s44, exec_lo
	s_or_b32 s45, s45, exec_lo
	s_mov_b32 s46, exec_lo
	v_ashrrev_i32_e32 v15, 31, v14
	v_lshlrev_b64 v[14:15], 2, v[14:15]
	v_add_co_u32 v16, s0, s12, v14
	v_add_co_ci_u32_e64 v17, null, s13, v15, s0
	global_load_dword v2, v[16:17], off
	s_waitcnt vmcnt(0)
	v_subrev_nc_u32_e32 v2, s37, v2
	v_cmpx_ne_u32_e64 v2, v1
	s_cbranch_execz .LBB13_31
; %bb.33:                               ;   in Loop: Header=BB13_32 Depth=3
	v_add_nc_u32_e32 v13, 1, v13
	s_andn2_b32 s45, s45, exec_lo
	s_andn2_b32 s44, s44, exec_lo
	v_cmp_ge_i32_e64 s0, v13, v28
	s_and_b32 s0, s0, exec_lo
	s_or_b32 s45, s45, s0
	s_branch .LBB13_31
.LBB13_34:                              ;   in Loop: Header=BB13_10 Depth=2
	s_inst_prefetch 0x2
	s_or_b32 exec_lo, exec_lo, s42
	s_and_saveexec_b32 s0, s43
	s_xor_b32 s42, exec_lo, s0
	s_cbranch_execz .LBB13_36
; %bb.35:                               ;   in Loop: Header=BB13_10 Depth=2
	v_add_co_u32 v12, s0, s14, v14
	v_add_co_ci_u32_e64 v13, null, s15, v15, s0
	global_load_dword v2, v[12:13], off
	s_waitcnt vmcnt(0)
	v_add_f32_e32 v5, v5, v2
.LBB13_36:                              ;   in Loop: Header=BB13_10 Depth=2
	s_or_b32 exec_lo, exec_lo, s42
	s_or_b32 exec_lo, exec_lo, s1
	s_mov_b32 s1, exec_lo
	v_cmpx_eq_u32_e64 v1, v11
	s_cbranch_execz .LBB13_9
.LBB13_37:                              ;   in Loop: Header=BB13_10 Depth=2
	v_add_co_u32 v9, s0, s2, v9
	v_add_co_ci_u32_e64 v10, null, s3, v10, s0
	global_load_dword v2, v[9:10], off
	s_waitcnt vmcnt(0)
	v_add_f32_e32 v5, v5, v2
	s_branch .LBB13_9
.LBB13_38:
	s_or_b32 exec_lo, exec_lo, s38
.LBB13_39:
	s_or_b32 exec_lo, exec_lo, s33
.LBB13_40:
	s_or_b32 exec_lo, exec_lo, s6
	v_mbcnt_lo_u32_b32 v1, -1, 0
	s_mov_b32 s0, exec_lo
	v_or_b32_e32 v2, 32, v1
	v_xor_b32_e32 v3, 16, v1
	v_xor_b32_e32 v4, 8, v1
	v_cmp_gt_i32_e32 vcc_lo, 32, v2
	v_cndmask_b32_e32 v2, v1, v2, vcc_lo
	v_cmp_gt_i32_e32 vcc_lo, 32, v3
	v_lshlrev_b32_e32 v2, 2, v2
	v_cndmask_b32_e32 v3, v1, v3, vcc_lo
	ds_bpermute_b32 v2, v2, v20
	v_lshlrev_b32_e32 v3, 2, v3
	s_waitcnt lgkmcnt(0)
	v_cmp_lt_f32_e32 vcc_lo, v20, v2
	v_cndmask_b32_e32 v2, v20, v2, vcc_lo
	v_cmp_gt_i32_e32 vcc_lo, 32, v4
	ds_bpermute_b32 v3, v3, v2
	v_cndmask_b32_e32 v4, v1, v4, vcc_lo
	v_lshlrev_b32_e32 v4, 2, v4
	s_waitcnt lgkmcnt(0)
	v_cmp_lt_f32_e32 vcc_lo, v2, v3
	v_cndmask_b32_e32 v2, v2, v3, vcc_lo
	ds_bpermute_b32 v3, v4, v2
	v_xor_b32_e32 v4, 4, v1
	v_cmp_gt_i32_e32 vcc_lo, 32, v4
	v_cndmask_b32_e32 v4, v1, v4, vcc_lo
	v_lshlrev_b32_e32 v4, 2, v4
	s_waitcnt lgkmcnt(0)
	v_cmp_lt_f32_e32 vcc_lo, v2, v3
	v_cndmask_b32_e32 v2, v2, v3, vcc_lo
	ds_bpermute_b32 v3, v4, v2
	v_xor_b32_e32 v4, 2, v1
	v_cmp_gt_i32_e32 vcc_lo, 32, v4
	;; [unrolled: 8-line block ×3, first 2 shown]
	v_cndmask_b32_e32 v4, v1, v4, vcc_lo
	s_waitcnt lgkmcnt(0)
	v_cmp_lt_f32_e32 vcc_lo, v2, v3
	v_cndmask_b32_e32 v1, v2, v3, vcc_lo
	v_lshlrev_b32_e32 v2, 2, v4
	ds_bpermute_b32 v2, v2, v1
	v_cmpx_eq_u32_e32 63, v19
	s_cbranch_execz .LBB13_42
; %bb.41:
	s_waitcnt lgkmcnt(0)
	v_cmp_lt_f32_e32 vcc_lo, v1, v2
	v_lshlrev_b32_e32 v3, 2, v18
	v_cndmask_b32_e32 v1, v1, v2, vcc_lo
	ds_write_b32 v3, v1
.LBB13_42:
	s_or_b32 exec_lo, exec_lo, s0
	v_lshlrev_b32_e32 v1, 2, v0
	s_mov_b32 s0, exec_lo
	s_waitcnt lgkmcnt(0)
	s_barrier
	buffer_gl0_inv
	v_cmpx_gt_u32_e32 8, v0
	s_cbranch_execz .LBB13_44
; %bb.43:
	ds_read2_b32 v[2:3], v1 offset1:8
	s_waitcnt lgkmcnt(0)
	v_cmp_lt_f32_e32 vcc_lo, v2, v3
	v_cndmask_b32_e32 v2, v2, v3, vcc_lo
	ds_write_b32 v1, v2
.LBB13_44:
	s_or_b32 exec_lo, exec_lo, s0
	s_mov_b32 s0, exec_lo
	s_waitcnt lgkmcnt(0)
	s_barrier
	buffer_gl0_inv
	v_cmpx_gt_u32_e32 4, v0
	s_cbranch_execz .LBB13_46
; %bb.45:
	ds_read2_b32 v[2:3], v1 offset1:4
	s_waitcnt lgkmcnt(0)
	v_cmp_lt_f32_e32 vcc_lo, v2, v3
	v_cndmask_b32_e32 v2, v2, v3, vcc_lo
	ds_write_b32 v1, v2
.LBB13_46:
	s_or_b32 exec_lo, exec_lo, s0
	;; [unrolled: 14-line block ×3, first 2 shown]
	v_cmp_eq_u32_e32 vcc_lo, 0, v0
	s_waitcnt lgkmcnt(0)
	s_barrier
	buffer_gl0_inv
	s_and_saveexec_b32 s1, vcc_lo
	s_cbranch_execz .LBB13_50
; %bb.49:
	v_mov_b32_e32 v2, 0
	ds_read_b64 v[0:1], v2
	s_waitcnt lgkmcnt(0)
	v_cmp_lt_f32_e64 s0, v0, v1
	v_cndmask_b32_e64 v0, v0, v1, s0
	ds_write_b32 v2, v0
.LBB13_50:
	s_or_b32 exec_lo, exec_lo, s1
	s_waitcnt lgkmcnt(0)
	s_barrier
	buffer_gl0_inv
	s_and_saveexec_b32 s0, vcc_lo
	s_cbranch_execz .LBB13_54
; %bb.51:
	v_mbcnt_lo_u32_b32 v0, exec_lo, 0
	s_mov_b32 s6, 0
	v_cmp_eq_u32_e32 vcc_lo, 0, v0
	s_and_b32 exec_lo, exec_lo, vcc_lo
	s_cbranch_execz .LBB13_54
; %bb.52:
	s_load_dwordx4 s[0:3], s[4:5], 0x88
	v_mov_b32_e32 v2, 0
	ds_read_b32 v0, v2
	s_waitcnt lgkmcnt(0)
	s_load_dword s2, s[2:3], 0x0
	s_load_dword s3, s[0:1], 0x0
	s_waitcnt lgkmcnt(0)
	v_div_scale_f32 v1, null, s2, s2, v0
	v_rcp_f32_e32 v3, v1
	v_fma_f32 v4, -v1, v3, 1.0
	v_fmac_f32_e32 v3, v4, v3
	v_div_scale_f32 v4, vcc_lo, v0, s2, v0
	v_mul_f32_e32 v5, v4, v3
	v_fma_f32 v6, -v1, v5, v4
	v_fmac_f32_e32 v5, v6, v3
	v_fma_f32 v1, -v1, v5, v4
	v_div_fmas_f32 v1, v1, v3, v5
	v_div_fixup_f32 v0, v1, s2, v0
	v_mov_b32_e32 v1, s3
	v_max_f32_e32 v3, v0, v0
.LBB13_53:                              ; =>This Inner Loop Header: Depth=1
	v_max_f32_e32 v0, v1, v1
	v_max_f32_e32 v0, v0, v3
	global_atomic_cmpswap v0, v2, v[0:1], s[0:1] glc
	s_waitcnt vmcnt(0)
	v_cmp_eq_u32_e32 vcc_lo, v0, v1
	v_mov_b32_e32 v1, v0
	s_or_b32 s6, vcc_lo, s6
	s_andn2_b32 exec_lo, exec_lo, s6
	s_cbranch_execnz .LBB13_53
.LBB13_54:
	s_endpgm
	.section	.rodata,"a",@progbits
	.p2align	6, 0x0
	.amdhsa_kernel _ZN9rocsparseL19kernel_nrm_residualILi1024ELi64EfiiEEvT3_T2_PKS2_S4_PKS1_PKT1_21rocsparse_index_base_S4_S4_S6_S9_SA_S4_S4_S6_S9_SA_S9_PNS_15floating_traitsIS7_E6data_tEPKSD_
		.amdhsa_group_segment_fixed_size 64
		.amdhsa_private_segment_fixed_size 0
		.amdhsa_kernarg_size 152
		.amdhsa_user_sgpr_count 6
		.amdhsa_user_sgpr_private_segment_buffer 1
		.amdhsa_user_sgpr_dispatch_ptr 0
		.amdhsa_user_sgpr_queue_ptr 0
		.amdhsa_user_sgpr_kernarg_segment_ptr 1
		.amdhsa_user_sgpr_dispatch_id 0
		.amdhsa_user_sgpr_flat_scratch_init 0
		.amdhsa_user_sgpr_private_segment_size 0
		.amdhsa_wavefront_size32 1
		.amdhsa_uses_dynamic_stack 0
		.amdhsa_system_sgpr_private_segment_wavefront_offset 0
		.amdhsa_system_sgpr_workgroup_id_x 1
		.amdhsa_system_sgpr_workgroup_id_y 0
		.amdhsa_system_sgpr_workgroup_id_z 0
		.amdhsa_system_sgpr_workgroup_info 0
		.amdhsa_system_vgpr_workitem_id 0
		.amdhsa_next_free_vgpr 37
		.amdhsa_next_free_sgpr 48
		.amdhsa_reserve_vcc 1
		.amdhsa_reserve_flat_scratch 0
		.amdhsa_float_round_mode_32 0
		.amdhsa_float_round_mode_16_64 0
		.amdhsa_float_denorm_mode_32 3
		.amdhsa_float_denorm_mode_16_64 3
		.amdhsa_dx10_clamp 1
		.amdhsa_ieee_mode 1
		.amdhsa_fp16_overflow 0
		.amdhsa_workgroup_processor_mode 1
		.amdhsa_memory_ordered 1
		.amdhsa_forward_progress 1
		.amdhsa_shared_vgpr_count 0
		.amdhsa_exception_fp_ieee_invalid_op 0
		.amdhsa_exception_fp_denorm_src 0
		.amdhsa_exception_fp_ieee_div_zero 0
		.amdhsa_exception_fp_ieee_overflow 0
		.amdhsa_exception_fp_ieee_underflow 0
		.amdhsa_exception_fp_ieee_inexact 0
		.amdhsa_exception_int_div_zero 0
	.end_amdhsa_kernel
	.section	.text._ZN9rocsparseL19kernel_nrm_residualILi1024ELi64EfiiEEvT3_T2_PKS2_S4_PKS1_PKT1_21rocsparse_index_base_S4_S4_S6_S9_SA_S4_S4_S6_S9_SA_S9_PNS_15floating_traitsIS7_E6data_tEPKSD_,"axG",@progbits,_ZN9rocsparseL19kernel_nrm_residualILi1024ELi64EfiiEEvT3_T2_PKS2_S4_PKS1_PKT1_21rocsparse_index_base_S4_S4_S6_S9_SA_S4_S4_S6_S9_SA_S9_PNS_15floating_traitsIS7_E6data_tEPKSD_,comdat
.Lfunc_end13:
	.size	_ZN9rocsparseL19kernel_nrm_residualILi1024ELi64EfiiEEvT3_T2_PKS2_S4_PKS1_PKT1_21rocsparse_index_base_S4_S4_S6_S9_SA_S4_S4_S6_S9_SA_S9_PNS_15floating_traitsIS7_E6data_tEPKSD_, .Lfunc_end13-_ZN9rocsparseL19kernel_nrm_residualILi1024ELi64EfiiEEvT3_T2_PKS2_S4_PKS1_PKT1_21rocsparse_index_base_S4_S4_S6_S9_SA_S4_S4_S6_S9_SA_S9_PNS_15floating_traitsIS7_E6data_tEPKSD_
                                        ; -- End function
	.set _ZN9rocsparseL19kernel_nrm_residualILi1024ELi64EfiiEEvT3_T2_PKS2_S4_PKS1_PKT1_21rocsparse_index_base_S4_S4_S6_S9_SA_S4_S4_S6_S9_SA_S9_PNS_15floating_traitsIS7_E6data_tEPKSD_.num_vgpr, 37
	.set _ZN9rocsparseL19kernel_nrm_residualILi1024ELi64EfiiEEvT3_T2_PKS2_S4_PKS1_PKT1_21rocsparse_index_base_S4_S4_S6_S9_SA_S4_S4_S6_S9_SA_S9_PNS_15floating_traitsIS7_E6data_tEPKSD_.num_agpr, 0
	.set _ZN9rocsparseL19kernel_nrm_residualILi1024ELi64EfiiEEvT3_T2_PKS2_S4_PKS1_PKT1_21rocsparse_index_base_S4_S4_S6_S9_SA_S4_S4_S6_S9_SA_S9_PNS_15floating_traitsIS7_E6data_tEPKSD_.numbered_sgpr, 48
	.set _ZN9rocsparseL19kernel_nrm_residualILi1024ELi64EfiiEEvT3_T2_PKS2_S4_PKS1_PKT1_21rocsparse_index_base_S4_S4_S6_S9_SA_S4_S4_S6_S9_SA_S9_PNS_15floating_traitsIS7_E6data_tEPKSD_.num_named_barrier, 0
	.set _ZN9rocsparseL19kernel_nrm_residualILi1024ELi64EfiiEEvT3_T2_PKS2_S4_PKS1_PKT1_21rocsparse_index_base_S4_S4_S6_S9_SA_S4_S4_S6_S9_SA_S9_PNS_15floating_traitsIS7_E6data_tEPKSD_.private_seg_size, 0
	.set _ZN9rocsparseL19kernel_nrm_residualILi1024ELi64EfiiEEvT3_T2_PKS2_S4_PKS1_PKT1_21rocsparse_index_base_S4_S4_S6_S9_SA_S4_S4_S6_S9_SA_S9_PNS_15floating_traitsIS7_E6data_tEPKSD_.uses_vcc, 1
	.set _ZN9rocsparseL19kernel_nrm_residualILi1024ELi64EfiiEEvT3_T2_PKS2_S4_PKS1_PKT1_21rocsparse_index_base_S4_S4_S6_S9_SA_S4_S4_S6_S9_SA_S9_PNS_15floating_traitsIS7_E6data_tEPKSD_.uses_flat_scratch, 0
	.set _ZN9rocsparseL19kernel_nrm_residualILi1024ELi64EfiiEEvT3_T2_PKS2_S4_PKS1_PKT1_21rocsparse_index_base_S4_S4_S6_S9_SA_S4_S4_S6_S9_SA_S9_PNS_15floating_traitsIS7_E6data_tEPKSD_.has_dyn_sized_stack, 0
	.set _ZN9rocsparseL19kernel_nrm_residualILi1024ELi64EfiiEEvT3_T2_PKS2_S4_PKS1_PKT1_21rocsparse_index_base_S4_S4_S6_S9_SA_S4_S4_S6_S9_SA_S9_PNS_15floating_traitsIS7_E6data_tEPKSD_.has_recursion, 0
	.set _ZN9rocsparseL19kernel_nrm_residualILi1024ELi64EfiiEEvT3_T2_PKS2_S4_PKS1_PKT1_21rocsparse_index_base_S4_S4_S6_S9_SA_S4_S4_S6_S9_SA_S9_PNS_15floating_traitsIS7_E6data_tEPKSD_.has_indirect_call, 0
	.section	.AMDGPU.csdata,"",@progbits
; Kernel info:
; codeLenInByte = 2328
; TotalNumSgprs: 50
; NumVgprs: 37
; ScratchSize: 0
; MemoryBound: 0
; FloatMode: 240
; IeeeMode: 1
; LDSByteSize: 64 bytes/workgroup (compile time only)
; SGPRBlocks: 0
; VGPRBlocks: 4
; NumSGPRsForWavesPerEU: 50
; NumVGPRsForWavesPerEU: 37
; Occupancy: 16
; WaveLimiterHint : 1
; COMPUTE_PGM_RSRC2:SCRATCH_EN: 0
; COMPUTE_PGM_RSRC2:USER_SGPR: 6
; COMPUTE_PGM_RSRC2:TRAP_HANDLER: 0
; COMPUTE_PGM_RSRC2:TGID_X_EN: 1
; COMPUTE_PGM_RSRC2:TGID_Y_EN: 0
; COMPUTE_PGM_RSRC2:TGID_Z_EN: 0
; COMPUTE_PGM_RSRC2:TIDIG_COMP_CNT: 0
	.section	.text._ZN9rocsparseL17kernel_correctionILi1024ELi1EdiiEEvT3_T2_PKS2_S4_PKS1_PKT1_21rocsparse_index_base_S4_S4_S6_S9_PS7_SA_S4_S4_S6_S9_SB_SA_S9_SB_,"axG",@progbits,_ZN9rocsparseL17kernel_correctionILi1024ELi1EdiiEEvT3_T2_PKS2_S4_PKS1_PKT1_21rocsparse_index_base_S4_S4_S6_S9_PS7_SA_S4_S4_S6_S9_SB_SA_S9_SB_,comdat
	.globl	_ZN9rocsparseL17kernel_correctionILi1024ELi1EdiiEEvT3_T2_PKS2_S4_PKS1_PKT1_21rocsparse_index_base_S4_S4_S6_S9_PS7_SA_S4_S4_S6_S9_SB_SA_S9_SB_ ; -- Begin function _ZN9rocsparseL17kernel_correctionILi1024ELi1EdiiEEvT3_T2_PKS2_S4_PKS1_PKT1_21rocsparse_index_base_S4_S4_S6_S9_PS7_SA_S4_S4_S6_S9_SB_SA_S9_SB_
	.p2align	8
	.type	_ZN9rocsparseL17kernel_correctionILi1024ELi1EdiiEEvT3_T2_PKS2_S4_PKS1_PKT1_21rocsparse_index_base_S4_S4_S6_S9_PS7_SA_S4_S4_S6_S9_SB_SA_S9_SB_,@function
_ZN9rocsparseL17kernel_correctionILi1024ELi1EdiiEEvT3_T2_PKS2_S4_PKS1_PKT1_21rocsparse_index_base_S4_S4_S6_S9_PS7_SA_S4_S4_S6_S9_SB_SA_S9_SB_: ; @_ZN9rocsparseL17kernel_correctionILi1024ELi1EdiiEEvT3_T2_PKS2_S4_PKS1_PKT1_21rocsparse_index_base_S4_S4_S6_S9_PS7_SA_S4_S4_S6_S9_SB_SA_S9_SB_
; %bb.0:
	s_load_dword s33, s[4:5], 0x0
	s_lshl_b32 s34, s6, 10
	s_mov_b32 s0, exec_lo
	v_or_b32_e32 v0, s34, v0
	s_waitcnt lgkmcnt(0)
	v_cmpx_gt_i32_e64 s33, v0
	s_cbranch_execz .LBB14_40
; %bb.1:
	s_addk_i32 s34, 0x400
	v_cmp_gt_u32_e32 vcc_lo, s34, v0
	s_and_b32 exec_lo, exec_lo, vcc_lo
	s_cbranch_execz .LBB14_40
; %bb.2:
	s_clause 0x8
	s_load_dwordx4 s[36:39], s[4:5], 0x90
	s_load_dwordx8 s[8:15], s[4:5], 0x60
	s_load_dwordx8 s[16:23], s[4:5], 0x30
	;; [unrolled: 1-line block ×3, first 2 shown]
	s_load_dword s35, s[4:5], 0x28
	s_load_dwordx2 s[2:3], s[4:5], 0x50
	s_load_dword s40, s[4:5], 0x58
	s_load_dwordx2 s[6:7], s[4:5], 0x80
	s_load_dword s4, s[4:5], 0x88
	v_mov_b32_e32 v2, 0
	s_mov_b32 s5, 0
	s_branch .LBB14_4
.LBB14_3:                               ;   in Loop: Header=BB14_4 Depth=1
	s_or_b32 exec_lo, exec_lo, s41
	v_add_nc_u32_e32 v0, 0x400, v0
	v_cmp_le_u32_e32 vcc_lo, s34, v0
	s_or_b32 s5, vcc_lo, s5
	s_andn2_b32 exec_lo, exec_lo, s5
	s_cbranch_execz .LBB14_40
.LBB14_4:                               ; =>This Loop Header: Depth=1
                                        ;     Child Loop BB14_8 Depth 2
                                        ;       Child Loop BB14_12 Depth 3
                                        ;       Child Loop BB14_26 Depth 3
	;; [unrolled: 1-line block ×3, first 2 shown]
	s_mov_b32 s41, exec_lo
	v_cmpx_gt_i32_e64 s33, v0
	s_cbranch_execz .LBB14_3
; %bb.5:                                ;   in Loop: Header=BB14_4 Depth=1
	v_ashrrev_i32_e32 v1, 31, v0
	v_lshlrev_b64 v[3:4], 2, v[0:1]
	s_waitcnt lgkmcnt(0)
	v_add_co_u32 v5, vcc_lo, s24, v3
	v_add_co_ci_u32_e64 v6, null, s25, v4, vcc_lo
	v_add_co_u32 v7, vcc_lo, s26, v3
	v_add_co_ci_u32_e64 v8, null, s27, v4, vcc_lo
	global_load_dword v1, v[5:6], off
	global_load_dword v5, v[7:8], off
	s_waitcnt vmcnt(0)
	v_cmp_lt_i32_e32 vcc_lo, v1, v5
	s_and_b32 exec_lo, exec_lo, vcc_lo
	s_cbranch_execz .LBB14_3
; %bb.6:                                ;   in Loop: Header=BB14_4 Depth=1
	v_add_co_u32 v6, vcc_lo, s16, v3
	v_add_co_ci_u32_e64 v7, null, s17, v4, vcc_lo
	v_add_co_u32 v3, vcc_lo, s18, v3
	v_add_co_ci_u32_e64 v4, null, s19, v4, vcc_lo
	global_load_dword v8, v[6:7], off
	v_subrev_nc_u32_e32 v14, s35, v5
	v_subrev_nc_u32_e32 v5, s35, v1
	global_load_dword v9, v[3:4], off
	s_mov_b32 s42, 0
	s_waitcnt vmcnt(1)
	v_subrev_nc_u32_e32 v3, s40, v8
	s_waitcnt vmcnt(0)
	v_sub_nc_u32_e32 v15, v9, v8
	v_ashrrev_i32_e32 v4, 31, v3
	v_cmp_lt_i32_e64 s0, 0, v15
	v_lshlrev_b64 v[6:7], 2, v[3:4]
	v_lshlrev_b64 v[8:9], 3, v[3:4]
	v_add_co_u32 v4, vcc_lo, s20, v6
	v_add_co_ci_u32_e64 v16, null, s21, v7, vcc_lo
	v_add_co_u32 v17, vcc_lo, s22, v8
	v_add_co_ci_u32_e64 v18, null, s23, v9, vcc_lo
	s_branch .LBB14_8
.LBB14_7:                               ;   in Loop: Header=BB14_8 Depth=2
	s_or_b32 exec_lo, exec_lo, s43
	v_add_nc_u32_e32 v5, 1, v5
	v_cmp_ge_i32_e32 vcc_lo, v5, v14
	s_or_b32 s42, vcc_lo, s42
	s_andn2_b32 exec_lo, exec_lo, s42
	s_cbranch_execz .LBB14_3
.LBB14_8:                               ;   Parent Loop BB14_4 Depth=1
                                        ; =>  This Loop Header: Depth=2
                                        ;       Child Loop BB14_12 Depth 3
                                        ;       Child Loop BB14_26 Depth 3
	;; [unrolled: 1-line block ×3, first 2 shown]
	v_ashrrev_i32_e32 v6, 31, v5
	v_lshlrev_b64 v[7:8], 2, v[5:6]
	v_add_co_u32 v7, vcc_lo, s28, v7
	v_add_co_ci_u32_e64 v8, null, s29, v8, vcc_lo
	global_load_dword v1, v[7:8], off
	s_waitcnt vmcnt(0)
	v_subrev_nc_u32_e32 v7, s35, v1
	v_ashrrev_i32_e32 v8, 31, v7
	v_lshlrev_b64 v[9:10], 2, v[7:8]
	v_add_co_u32 v11, vcc_lo, s8, v9
	v_add_co_ci_u32_e64 v12, null, s9, v10, vcc_lo
	v_add_co_u32 v9, vcc_lo, s10, v9
	v_add_co_ci_u32_e64 v10, null, s11, v10, vcc_lo
	global_load_dword v1, v[11:12], off
	global_load_dword v11, v[9:10], off
	v_mov_b32_e32 v10, 0
	v_mov_b32_e32 v12, 0
	;; [unrolled: 1-line block ×3, first 2 shown]
	s_waitcnt vmcnt(1)
	v_subrev_nc_u32_e32 v9, s4, v1
	s_waitcnt vmcnt(0)
	v_sub_nc_u32_e32 v19, v11, v1
	v_mov_b32_e32 v1, v10
	s_and_saveexec_b32 s43, s0
	s_cbranch_execz .LBB14_16
; %bb.9:                                ;   in Loop: Header=BB14_8 Depth=2
	v_ashrrev_i32_e32 v10, 31, v9
	v_mov_b32_e32 v12, 0
	v_mov_b32_e32 v13, 0
	;; [unrolled: 1-line block ×3, first 2 shown]
	s_mov_b32 s44, 0
	v_lshlrev_b64 v[20:21], 2, v[9:10]
	v_lshlrev_b64 v[10:11], 3, v[9:10]
                                        ; implicit-def: $sgpr45
	v_add_co_u32 v20, vcc_lo, s12, v20
	v_add_co_ci_u32_e64 v21, null, s13, v21, vcc_lo
	v_add_co_u32 v22, vcc_lo, s14, v10
	v_add_co_ci_u32_e64 v23, null, s15, v11, vcc_lo
	v_mov_b32_e32 v10, 0
	s_branch .LBB14_12
.LBB14_10:                              ;   in Loop: Header=BB14_12 Depth=3
	s_or_b32 exec_lo, exec_lo, s1
	v_cmp_le_i32_e32 vcc_lo, v24, v25
	v_cmp_ge_i32_e64 s1, v24, v25
	v_add_co_ci_u32_e64 v1, null, 0, v1, vcc_lo
	v_add_co_ci_u32_e64 v10, null, 0, v10, s1
	s_andn2_b32 s1, s45, exec_lo
	v_cmp_ge_i32_e32 vcc_lo, v1, v15
	s_and_b32 s45, vcc_lo, exec_lo
	s_or_b32 s45, s1, s45
.LBB14_11:                              ;   in Loop: Header=BB14_12 Depth=3
	s_or_b32 exec_lo, exec_lo, s46
	s_and_b32 s1, exec_lo, s45
	s_or_b32 s44, s1, s44
	s_andn2_b32 exec_lo, exec_lo, s44
	s_cbranch_execz .LBB14_15
.LBB14_12:                              ;   Parent Loop BB14_4 Depth=1
                                        ;     Parent Loop BB14_8 Depth=2
                                        ; =>    This Inner Loop Header: Depth=3
	s_or_b32 s45, s45, exec_lo
	s_mov_b32 s46, exec_lo
	v_cmpx_lt_i32_e64 v10, v19
	s_cbranch_execz .LBB14_11
; %bb.13:                               ;   in Loop: Header=BB14_12 Depth=3
	v_mov_b32_e32 v11, v2
	v_lshlrev_b64 v[24:25], 2, v[1:2]
	s_mov_b32 s1, exec_lo
	v_lshlrev_b64 v[26:27], 2, v[10:11]
	v_add_co_u32 v24, vcc_lo, v4, v24
	v_add_co_ci_u32_e64 v25, null, v16, v25, vcc_lo
	v_add_co_u32 v26, vcc_lo, v20, v26
	v_add_co_ci_u32_e64 v27, null, v21, v27, vcc_lo
	global_load_dword v24, v[24:25], off
	global_load_dword v25, v[26:27], off
	s_waitcnt vmcnt(1)
	v_subrev_nc_u32_e32 v24, s40, v24
	s_waitcnt vmcnt(0)
	v_subrev_nc_u32_e32 v25, s4, v25
	v_cmpx_eq_u32_e64 v24, v25
	s_cbranch_execz .LBB14_10
; %bb.14:                               ;   in Loop: Header=BB14_12 Depth=3
	v_lshlrev_b64 v[26:27], 3, v[1:2]
	v_lshlrev_b64 v[28:29], 3, v[10:11]
	v_add_co_u32 v26, vcc_lo, v17, v26
	v_add_co_ci_u32_e64 v27, null, v18, v27, vcc_lo
	v_add_co_u32 v28, vcc_lo, v22, v28
	v_add_co_ci_u32_e64 v29, null, v23, v29, vcc_lo
	global_load_dwordx2 v[26:27], v[26:27], off
	global_load_dwordx2 v[28:29], v[28:29], off
	s_waitcnt vmcnt(0)
	v_fma_f64 v[12:13], v[26:27], v[28:29], v[12:13]
	s_branch .LBB14_10
.LBB14_15:                              ;   in Loop: Header=BB14_8 Depth=2
	s_or_b32 exec_lo, exec_lo, s44
.LBB14_16:                              ;   in Loop: Header=BB14_8 Depth=2
	s_or_b32 exec_lo, exec_lo, s43
	v_lshlrev_b64 v[20:21], 3, v[5:6]
	v_cmp_le_i32_e64 s1, v0, v7
	s_mov_b32 s43, exec_lo
	v_add_co_u32 v20, vcc_lo, s30, v20
	v_add_co_ci_u32_e64 v21, null, s31, v21, vcc_lo
	global_load_dwordx2 v[20:21], v[20:21], off
	s_waitcnt vmcnt(0)
	v_add_f64 v[11:12], v[20:21], -v[12:13]
	v_cmpx_gt_i32_e64 v0, v7
	s_cbranch_execz .LBB14_18
; %bb.17:                               ;   in Loop: Header=BB14_8 Depth=2
	v_lshlrev_b64 v[20:21], 3, v[7:8]
	v_add_co_u32 v20, vcc_lo, s36, v20
	v_add_co_ci_u32_e64 v21, null, s37, v21, vcc_lo
	global_load_dwordx2 v[20:21], v[20:21], off
	s_waitcnt vmcnt(0)
	v_div_scale_f64 v[22:23], null, v[20:21], v[20:21], v[11:12]
	v_rcp_f64_e32 v[24:25], v[22:23]
	v_fma_f64 v[26:27], -v[22:23], v[24:25], 1.0
	v_fma_f64 v[24:25], v[24:25], v[26:27], v[24:25]
	v_fma_f64 v[26:27], -v[22:23], v[24:25], 1.0
	v_fma_f64 v[24:25], v[24:25], v[26:27], v[24:25]
	v_div_scale_f64 v[26:27], vcc_lo, v[11:12], v[20:21], v[11:12]
	v_mul_f64 v[28:29], v[26:27], v[24:25]
	v_fma_f64 v[22:23], -v[22:23], v[28:29], v[26:27]
	v_div_fmas_f64 v[22:23], v[22:23], v[24:25], v[28:29]
	v_div_fixup_f64 v[11:12], v[22:23], v[20:21], v[11:12]
.LBB14_18:                              ;   in Loop: Header=BB14_8 Depth=2
	s_or_b32 exec_lo, exec_lo, s43
	v_cmp_class_f64_e64 s44, v[11:12], 0x1f8
	s_and_saveexec_b32 s43, s44
	s_cbranch_execz .LBB14_7
; %bb.19:                               ;   in Loop: Header=BB14_8 Depth=2
	s_and_saveexec_b32 s44, s1
	s_xor_b32 s1, exec_lo, s44
	s_cbranch_execz .LBB14_32
; %bb.20:                               ;   in Loop: Header=BB14_8 Depth=2
	s_mov_b32 s44, exec_lo
	v_cmpx_ge_i32_e64 v0, v7
	s_xor_b32 s44, exec_lo, s44
	s_cbranch_execz .LBB14_22
; %bb.21:                               ;   in Loop: Header=BB14_8 Depth=2
	v_lshlrev_b64 v[6:7], 3, v[7:8]
                                        ; implicit-def: $vgpr10
                                        ; implicit-def: $vgpr19
                                        ; implicit-def: $vgpr9
	v_add_co_u32 v6, vcc_lo, s38, v6
	v_add_co_ci_u32_e64 v7, null, s39, v7, vcc_lo
	global_store_dwordx2 v[6:7], v[11:12], off
                                        ; implicit-def: $vgpr11_vgpr12
.LBB14_22:                              ;   in Loop: Header=BB14_8 Depth=2
	s_andn2_saveexec_b32 s44, s44
	s_cbranch_execz .LBB14_31
; %bb.23:                               ;   in Loop: Header=BB14_8 Depth=2
	s_mov_b32 s45, exec_lo
	v_cmpx_lt_i32_e64 v10, v19
	s_cbranch_execz .LBB14_30
; %bb.24:                               ;   in Loop: Header=BB14_8 Depth=2
	s_mov_b32 s46, 0
                                        ; implicit-def: $sgpr47
                                        ; implicit-def: $sgpr49
                                        ; implicit-def: $sgpr48
	s_inst_prefetch 0x1
	s_branch .LBB14_26
	.p2align	6
.LBB14_25:                              ;   in Loop: Header=BB14_26 Depth=3
	s_or_b32 exec_lo, exec_lo, s50
	s_and_b32 s50, exec_lo, s49
	s_or_b32 s46, s50, s46
	s_andn2_b32 s47, s47, exec_lo
	s_and_b32 s50, s48, exec_lo
	s_or_b32 s47, s47, s50
	s_andn2_b32 exec_lo, exec_lo, s46
	s_cbranch_execz .LBB14_28
.LBB14_26:                              ;   Parent Loop BB14_4 Depth=1
                                        ;     Parent Loop BB14_8 Depth=2
                                        ; =>    This Inner Loop Header: Depth=3
	v_add_nc_u32_e32 v6, v9, v10
	s_or_b32 s48, s48, exec_lo
	s_or_b32 s49, s49, exec_lo
	s_mov_b32 s50, exec_lo
	v_ashrrev_i32_e32 v7, 31, v6
	v_lshlrev_b64 v[20:21], 2, v[6:7]
	v_add_co_u32 v20, vcc_lo, s12, v20
	v_add_co_ci_u32_e64 v21, null, s13, v21, vcc_lo
	global_load_dword v1, v[20:21], off
	s_waitcnt vmcnt(0)
	v_subrev_nc_u32_e32 v1, s4, v1
	v_cmpx_ne_u32_e64 v1, v0
	s_cbranch_execz .LBB14_25
; %bb.27:                               ;   in Loop: Header=BB14_26 Depth=3
	v_add_nc_u32_e32 v10, 1, v10
	s_andn2_b32 s49, s49, exec_lo
	s_andn2_b32 s48, s48, exec_lo
	v_cmp_ge_i32_e32 vcc_lo, v10, v19
	s_and_b32 s51, vcc_lo, exec_lo
	s_or_b32 s49, s49, s51
	s_branch .LBB14_25
.LBB14_28:                              ;   in Loop: Header=BB14_8 Depth=2
	s_inst_prefetch 0x2
	s_or_b32 exec_lo, exec_lo, s46
	s_and_saveexec_b32 s46, s47
	s_xor_b32 s46, exec_lo, s46
	s_cbranch_execz .LBB14_30
; %bb.29:                               ;   in Loop: Header=BB14_8 Depth=2
	v_lshlrev_b64 v[6:7], 3, v[6:7]
	v_add_co_u32 v6, vcc_lo, s6, v6
	v_add_co_ci_u32_e64 v7, null, s7, v7, vcc_lo
	global_store_dwordx2 v[6:7], v[11:12], off
.LBB14_30:                              ;   in Loop: Header=BB14_8 Depth=2
	s_or_b32 exec_lo, exec_lo, s45
.LBB14_31:                              ;   in Loop: Header=BB14_8 Depth=2
	s_or_b32 exec_lo, exec_lo, s44
                                        ; implicit-def: $vgpr11_vgpr12
                                        ; implicit-def: $vgpr7_vgpr8
.LBB14_32:                              ;   in Loop: Header=BB14_8 Depth=2
	s_andn2_saveexec_b32 s1, s1
	s_cbranch_execz .LBB14_7
; %bb.33:                               ;   in Loop: Header=BB14_8 Depth=2
	v_cmp_lt_i32_e32 vcc_lo, v1, v15
	s_and_b32 exec_lo, exec_lo, vcc_lo
	s_cbranch_execz .LBB14_7
; %bb.34:                               ;   in Loop: Header=BB14_8 Depth=2
	s_mov_b32 s1, 0
                                        ; implicit-def: $sgpr44
                                        ; implicit-def: $sgpr46
                                        ; implicit-def: $sgpr45
	s_inst_prefetch 0x1
	s_branch .LBB14_36
	.p2align	6
.LBB14_35:                              ;   in Loop: Header=BB14_36 Depth=3
	s_or_b32 exec_lo, exec_lo, s47
	s_and_b32 s47, exec_lo, s46
	s_or_b32 s1, s47, s1
	s_andn2_b32 s44, s44, exec_lo
	s_and_b32 s47, s45, exec_lo
	s_or_b32 s44, s44, s47
	s_andn2_b32 exec_lo, exec_lo, s1
	s_cbranch_execz .LBB14_38
.LBB14_36:                              ;   Parent Loop BB14_4 Depth=1
                                        ;     Parent Loop BB14_8 Depth=2
                                        ; =>    This Inner Loop Header: Depth=3
	v_add_nc_u32_e32 v8, v3, v1
	s_or_b32 s45, s45, exec_lo
	s_or_b32 s46, s46, exec_lo
	s_mov_b32 s47, exec_lo
	v_ashrrev_i32_e32 v9, 31, v8
	v_lshlrev_b64 v[19:20], 2, v[8:9]
	v_add_co_u32 v19, vcc_lo, s20, v19
	v_add_co_ci_u32_e64 v20, null, s21, v20, vcc_lo
	global_load_dword v6, v[19:20], off
	s_waitcnt vmcnt(0)
	v_subrev_nc_u32_e32 v6, s40, v6
	v_cmpx_ne_u32_e64 v6, v7
	s_cbranch_execz .LBB14_35
; %bb.37:                               ;   in Loop: Header=BB14_36 Depth=3
	v_add_nc_u32_e32 v1, 1, v1
	s_andn2_b32 s46, s46, exec_lo
	s_andn2_b32 s45, s45, exec_lo
	v_cmp_ge_i32_e32 vcc_lo, v1, v15
	s_and_b32 s48, vcc_lo, exec_lo
	s_or_b32 s46, s46, s48
	s_branch .LBB14_35
.LBB14_38:                              ;   in Loop: Header=BB14_8 Depth=2
	s_inst_prefetch 0x2
	s_or_b32 exec_lo, exec_lo, s1
	s_and_saveexec_b32 s1, s44
	s_xor_b32 s1, exec_lo, s1
	s_cbranch_execz .LBB14_7
; %bb.39:                               ;   in Loop: Header=BB14_8 Depth=2
	v_lshlrev_b64 v[6:7], 3, v[8:9]
	v_add_co_u32 v6, vcc_lo, s2, v6
	v_add_co_ci_u32_e64 v7, null, s3, v7, vcc_lo
	global_store_dwordx2 v[6:7], v[11:12], off
	s_branch .LBB14_7
.LBB14_40:
	s_endpgm
	.section	.rodata,"a",@progbits
	.p2align	6, 0x0
	.amdhsa_kernel _ZN9rocsparseL17kernel_correctionILi1024ELi1EdiiEEvT3_T2_PKS2_S4_PKS1_PKT1_21rocsparse_index_base_S4_S4_S6_S9_PS7_SA_S4_S4_S6_S9_SB_SA_S9_SB_
		.amdhsa_group_segment_fixed_size 0
		.amdhsa_private_segment_fixed_size 0
		.amdhsa_kernarg_size 160
		.amdhsa_user_sgpr_count 6
		.amdhsa_user_sgpr_private_segment_buffer 1
		.amdhsa_user_sgpr_dispatch_ptr 0
		.amdhsa_user_sgpr_queue_ptr 0
		.amdhsa_user_sgpr_kernarg_segment_ptr 1
		.amdhsa_user_sgpr_dispatch_id 0
		.amdhsa_user_sgpr_flat_scratch_init 0
		.amdhsa_user_sgpr_private_segment_size 0
		.amdhsa_wavefront_size32 1
		.amdhsa_uses_dynamic_stack 0
		.amdhsa_system_sgpr_private_segment_wavefront_offset 0
		.amdhsa_system_sgpr_workgroup_id_x 1
		.amdhsa_system_sgpr_workgroup_id_y 0
		.amdhsa_system_sgpr_workgroup_id_z 0
		.amdhsa_system_sgpr_workgroup_info 0
		.amdhsa_system_vgpr_workitem_id 0
		.amdhsa_next_free_vgpr 30
		.amdhsa_next_free_sgpr 52
		.amdhsa_reserve_vcc 1
		.amdhsa_reserve_flat_scratch 0
		.amdhsa_float_round_mode_32 0
		.amdhsa_float_round_mode_16_64 0
		.amdhsa_float_denorm_mode_32 3
		.amdhsa_float_denorm_mode_16_64 3
		.amdhsa_dx10_clamp 1
		.amdhsa_ieee_mode 1
		.amdhsa_fp16_overflow 0
		.amdhsa_workgroup_processor_mode 1
		.amdhsa_memory_ordered 1
		.amdhsa_forward_progress 1
		.amdhsa_shared_vgpr_count 0
		.amdhsa_exception_fp_ieee_invalid_op 0
		.amdhsa_exception_fp_denorm_src 0
		.amdhsa_exception_fp_ieee_div_zero 0
		.amdhsa_exception_fp_ieee_overflow 0
		.amdhsa_exception_fp_ieee_underflow 0
		.amdhsa_exception_fp_ieee_inexact 0
		.amdhsa_exception_int_div_zero 0
	.end_amdhsa_kernel
	.section	.text._ZN9rocsparseL17kernel_correctionILi1024ELi1EdiiEEvT3_T2_PKS2_S4_PKS1_PKT1_21rocsparse_index_base_S4_S4_S6_S9_PS7_SA_S4_S4_S6_S9_SB_SA_S9_SB_,"axG",@progbits,_ZN9rocsparseL17kernel_correctionILi1024ELi1EdiiEEvT3_T2_PKS2_S4_PKS1_PKT1_21rocsparse_index_base_S4_S4_S6_S9_PS7_SA_S4_S4_S6_S9_SB_SA_S9_SB_,comdat
.Lfunc_end14:
	.size	_ZN9rocsparseL17kernel_correctionILi1024ELi1EdiiEEvT3_T2_PKS2_S4_PKS1_PKT1_21rocsparse_index_base_S4_S4_S6_S9_PS7_SA_S4_S4_S6_S9_SB_SA_S9_SB_, .Lfunc_end14-_ZN9rocsparseL17kernel_correctionILi1024ELi1EdiiEEvT3_T2_PKS2_S4_PKS1_PKT1_21rocsparse_index_base_S4_S4_S6_S9_PS7_SA_S4_S4_S6_S9_SB_SA_S9_SB_
                                        ; -- End function
	.set _ZN9rocsparseL17kernel_correctionILi1024ELi1EdiiEEvT3_T2_PKS2_S4_PKS1_PKT1_21rocsparse_index_base_S4_S4_S6_S9_PS7_SA_S4_S4_S6_S9_SB_SA_S9_SB_.num_vgpr, 30
	.set _ZN9rocsparseL17kernel_correctionILi1024ELi1EdiiEEvT3_T2_PKS2_S4_PKS1_PKT1_21rocsparse_index_base_S4_S4_S6_S9_PS7_SA_S4_S4_S6_S9_SB_SA_S9_SB_.num_agpr, 0
	.set _ZN9rocsparseL17kernel_correctionILi1024ELi1EdiiEEvT3_T2_PKS2_S4_PKS1_PKT1_21rocsparse_index_base_S4_S4_S6_S9_PS7_SA_S4_S4_S6_S9_SB_SA_S9_SB_.numbered_sgpr, 52
	.set _ZN9rocsparseL17kernel_correctionILi1024ELi1EdiiEEvT3_T2_PKS2_S4_PKS1_PKT1_21rocsparse_index_base_S4_S4_S6_S9_PS7_SA_S4_S4_S6_S9_SB_SA_S9_SB_.num_named_barrier, 0
	.set _ZN9rocsparseL17kernel_correctionILi1024ELi1EdiiEEvT3_T2_PKS2_S4_PKS1_PKT1_21rocsparse_index_base_S4_S4_S6_S9_PS7_SA_S4_S4_S6_S9_SB_SA_S9_SB_.private_seg_size, 0
	.set _ZN9rocsparseL17kernel_correctionILi1024ELi1EdiiEEvT3_T2_PKS2_S4_PKS1_PKT1_21rocsparse_index_base_S4_S4_S6_S9_PS7_SA_S4_S4_S6_S9_SB_SA_S9_SB_.uses_vcc, 1
	.set _ZN9rocsparseL17kernel_correctionILi1024ELi1EdiiEEvT3_T2_PKS2_S4_PKS1_PKT1_21rocsparse_index_base_S4_S4_S6_S9_PS7_SA_S4_S4_S6_S9_SB_SA_S9_SB_.uses_flat_scratch, 0
	.set _ZN9rocsparseL17kernel_correctionILi1024ELi1EdiiEEvT3_T2_PKS2_S4_PKS1_PKT1_21rocsparse_index_base_S4_S4_S6_S9_PS7_SA_S4_S4_S6_S9_SB_SA_S9_SB_.has_dyn_sized_stack, 0
	.set _ZN9rocsparseL17kernel_correctionILi1024ELi1EdiiEEvT3_T2_PKS2_S4_PKS1_PKT1_21rocsparse_index_base_S4_S4_S6_S9_PS7_SA_S4_S4_S6_S9_SB_SA_S9_SB_.has_recursion, 0
	.set _ZN9rocsparseL17kernel_correctionILi1024ELi1EdiiEEvT3_T2_PKS2_S4_PKS1_PKT1_21rocsparse_index_base_S4_S4_S6_S9_PS7_SA_S4_S4_S6_S9_SB_SA_S9_SB_.has_indirect_call, 0
	.section	.AMDGPU.csdata,"",@progbits
; Kernel info:
; codeLenInByte = 1728
; TotalNumSgprs: 54
; NumVgprs: 30
; ScratchSize: 0
; MemoryBound: 1
; FloatMode: 240
; IeeeMode: 1
; LDSByteSize: 0 bytes/workgroup (compile time only)
; SGPRBlocks: 0
; VGPRBlocks: 3
; NumSGPRsForWavesPerEU: 54
; NumVGPRsForWavesPerEU: 30
; Occupancy: 16
; WaveLimiterHint : 1
; COMPUTE_PGM_RSRC2:SCRATCH_EN: 0
; COMPUTE_PGM_RSRC2:USER_SGPR: 6
; COMPUTE_PGM_RSRC2:TRAP_HANDLER: 0
; COMPUTE_PGM_RSRC2:TGID_X_EN: 1
; COMPUTE_PGM_RSRC2:TGID_Y_EN: 0
; COMPUTE_PGM_RSRC2:TGID_Z_EN: 0
; COMPUTE_PGM_RSRC2:TIDIG_COMP_CNT: 0
	.section	.text._ZN9rocsparseL17kernel_correctionILi1024ELi2EdiiEEvT3_T2_PKS2_S4_PKS1_PKT1_21rocsparse_index_base_S4_S4_S6_S9_PS7_SA_S4_S4_S6_S9_SB_SA_S9_SB_,"axG",@progbits,_ZN9rocsparseL17kernel_correctionILi1024ELi2EdiiEEvT3_T2_PKS2_S4_PKS1_PKT1_21rocsparse_index_base_S4_S4_S6_S9_PS7_SA_S4_S4_S6_S9_SB_SA_S9_SB_,comdat
	.globl	_ZN9rocsparseL17kernel_correctionILi1024ELi2EdiiEEvT3_T2_PKS2_S4_PKS1_PKT1_21rocsparse_index_base_S4_S4_S6_S9_PS7_SA_S4_S4_S6_S9_SB_SA_S9_SB_ ; -- Begin function _ZN9rocsparseL17kernel_correctionILi1024ELi2EdiiEEvT3_T2_PKS2_S4_PKS1_PKT1_21rocsparse_index_base_S4_S4_S6_S9_PS7_SA_S4_S4_S6_S9_SB_SA_S9_SB_
	.p2align	8
	.type	_ZN9rocsparseL17kernel_correctionILi1024ELi2EdiiEEvT3_T2_PKS2_S4_PKS1_PKT1_21rocsparse_index_base_S4_S4_S6_S9_PS7_SA_S4_S4_S6_S9_SB_SA_S9_SB_,@function
_ZN9rocsparseL17kernel_correctionILi1024ELi2EdiiEEvT3_T2_PKS2_S4_PKS1_PKT1_21rocsparse_index_base_S4_S4_S6_S9_PS7_SA_S4_S4_S6_S9_SB_SA_S9_SB_: ; @_ZN9rocsparseL17kernel_correctionILi1024ELi2EdiiEEvT3_T2_PKS2_S4_PKS1_PKT1_21rocsparse_index_base_S4_S4_S6_S9_PS7_SA_S4_S4_S6_S9_SB_SA_S9_SB_
; %bb.0:
	s_load_dword s33, s[4:5], 0x0
	v_lshrrev_b32_e32 v1, 1, v0
	s_lshl_b32 s34, s6, 10
	s_mov_b32 s0, exec_lo
	v_or_b32_e32 v1, s34, v1
	s_waitcnt lgkmcnt(0)
	v_cmpx_gt_i32_e64 s33, v1
	s_cbranch_execz .LBB15_40
; %bb.1:
	s_addk_i32 s34, 0x400
	v_cmp_gt_u32_e32 vcc_lo, s34, v1
	s_and_b32 exec_lo, exec_lo, vcc_lo
	s_cbranch_execz .LBB15_40
; %bb.2:
	s_clause 0x8
	s_load_dwordx4 s[36:39], s[4:5], 0x90
	s_load_dwordx8 s[8:15], s[4:5], 0x60
	s_load_dword s35, s[4:5], 0x28
	s_load_dwordx8 s[16:23], s[4:5], 0x30
	s_load_dwordx8 s[24:31], s[4:5], 0x8
	s_load_dwordx2 s[2:3], s[4:5], 0x50
	s_load_dword s40, s[4:5], 0x58
	s_load_dwordx2 s[6:7], s[4:5], 0x80
	s_load_dword s4, s[4:5], 0x88
	v_and_b32_e32 v0, 1, v0
	v_mov_b32_e32 v3, 0
	s_mov_b32 s5, 0
	s_waitcnt lgkmcnt(0)
	v_subrev_nc_u32_e32 v0, s35, v0
	s_branch .LBB15_4
.LBB15_3:                               ;   in Loop: Header=BB15_4 Depth=1
	s_or_b32 exec_lo, exec_lo, s41
	v_add_nc_u32_e32 v1, 0x200, v1
	v_cmp_le_u32_e32 vcc_lo, s34, v1
	s_or_b32 s5, vcc_lo, s5
	s_andn2_b32 exec_lo, exec_lo, s5
	s_cbranch_execz .LBB15_40
.LBB15_4:                               ; =>This Loop Header: Depth=1
                                        ;     Child Loop BB15_8 Depth 2
                                        ;       Child Loop BB15_12 Depth 3
                                        ;       Child Loop BB15_26 Depth 3
	;; [unrolled: 1-line block ×3, first 2 shown]
	s_mov_b32 s41, exec_lo
	v_cmpx_gt_i32_e64 s33, v1
	s_cbranch_execz .LBB15_3
; %bb.5:                                ;   in Loop: Header=BB15_4 Depth=1
	v_ashrrev_i32_e32 v2, 31, v1
	v_lshlrev_b64 v[5:6], 2, v[1:2]
	v_add_co_u32 v7, vcc_lo, s24, v5
	v_add_co_ci_u32_e64 v8, null, s25, v6, vcc_lo
	v_add_co_u32 v9, vcc_lo, s26, v5
	v_add_co_ci_u32_e64 v10, null, s27, v6, vcc_lo
	global_load_dword v2, v[7:8], off
	global_load_dword v7, v[9:10], off
	s_waitcnt vmcnt(1)
	v_add_nc_u32_e32 v4, v0, v2
	s_waitcnt vmcnt(0)
	v_subrev_nc_u32_e32 v14, s35, v7
	v_cmp_lt_i32_e32 vcc_lo, v4, v14
	s_and_b32 exec_lo, exec_lo, vcc_lo
	s_cbranch_execz .LBB15_3
; %bb.6:                                ;   in Loop: Header=BB15_4 Depth=1
	v_add_co_u32 v7, vcc_lo, s16, v5
	v_add_co_ci_u32_e64 v8, null, s17, v6, vcc_lo
	v_add_co_u32 v5, vcc_lo, s18, v5
	v_add_co_ci_u32_e64 v6, null, s19, v6, vcc_lo
	global_load_dword v2, v[7:8], off
	s_mov_b32 s42, 0
	global_load_dword v5, v[5:6], off
	s_waitcnt vmcnt(1)
	v_subrev_nc_u32_e32 v6, s40, v2
	s_waitcnt vmcnt(0)
	v_sub_nc_u32_e32 v15, v5, v2
	v_ashrrev_i32_e32 v7, 31, v6
	v_cmp_lt_i32_e64 s0, 0, v15
	v_lshlrev_b64 v[8:9], 2, v[6:7]
	v_lshlrev_b64 v[10:11], 3, v[6:7]
	v_add_co_u32 v16, vcc_lo, s20, v8
	v_add_co_ci_u32_e64 v17, null, s21, v9, vcc_lo
	v_add_co_u32 v18, vcc_lo, s22, v10
	v_add_co_ci_u32_e64 v19, null, s23, v11, vcc_lo
	s_branch .LBB15_8
.LBB15_7:                               ;   in Loop: Header=BB15_8 Depth=2
	s_or_b32 exec_lo, exec_lo, s43
	v_add_nc_u32_e32 v4, 2, v4
	v_cmp_ge_i32_e32 vcc_lo, v4, v14
	s_or_b32 s42, vcc_lo, s42
	s_andn2_b32 exec_lo, exec_lo, s42
	s_cbranch_execz .LBB15_3
.LBB15_8:                               ;   Parent Loop BB15_4 Depth=1
                                        ; =>  This Loop Header: Depth=2
                                        ;       Child Loop BB15_12 Depth 3
                                        ;       Child Loop BB15_26 Depth 3
	;; [unrolled: 1-line block ×3, first 2 shown]
	v_ashrrev_i32_e32 v5, 31, v4
	v_lshlrev_b64 v[7:8], 2, v[4:5]
	v_add_co_u32 v7, vcc_lo, s28, v7
	v_add_co_ci_u32_e64 v8, null, s29, v8, vcc_lo
	global_load_dword v2, v[7:8], off
	s_waitcnt vmcnt(0)
	v_subrev_nc_u32_e32 v7, s35, v2
	v_ashrrev_i32_e32 v8, 31, v7
	v_lshlrev_b64 v[9:10], 2, v[7:8]
	v_add_co_u32 v11, vcc_lo, s8, v9
	v_add_co_ci_u32_e64 v12, null, s9, v10, vcc_lo
	v_add_co_u32 v9, vcc_lo, s10, v9
	v_add_co_ci_u32_e64 v10, null, s11, v10, vcc_lo
	global_load_dword v2, v[11:12], off
	global_load_dword v11, v[9:10], off
	v_mov_b32_e32 v10, 0
	v_mov_b32_e32 v12, 0
	;; [unrolled: 1-line block ×3, first 2 shown]
	s_waitcnt vmcnt(1)
	v_subrev_nc_u32_e32 v9, s4, v2
	s_waitcnt vmcnt(0)
	v_sub_nc_u32_e32 v20, v11, v2
	v_mov_b32_e32 v2, v10
	s_and_saveexec_b32 s43, s0
	s_cbranch_execz .LBB15_16
; %bb.9:                                ;   in Loop: Header=BB15_8 Depth=2
	v_ashrrev_i32_e32 v10, 31, v9
	v_mov_b32_e32 v12, 0
	v_mov_b32_e32 v13, 0
	;; [unrolled: 1-line block ×3, first 2 shown]
	s_mov_b32 s44, 0
	v_lshlrev_b64 v[21:22], 2, v[9:10]
	v_lshlrev_b64 v[10:11], 3, v[9:10]
                                        ; implicit-def: $sgpr45
	v_add_co_u32 v21, vcc_lo, s12, v21
	v_add_co_ci_u32_e64 v22, null, s13, v22, vcc_lo
	v_add_co_u32 v23, vcc_lo, s14, v10
	v_add_co_ci_u32_e64 v24, null, s15, v11, vcc_lo
	v_mov_b32_e32 v10, 0
	s_branch .LBB15_12
.LBB15_10:                              ;   in Loop: Header=BB15_12 Depth=3
	s_or_b32 exec_lo, exec_lo, s1
	v_cmp_le_i32_e32 vcc_lo, v25, v26
	v_cmp_ge_i32_e64 s1, v25, v26
	v_add_co_ci_u32_e64 v2, null, 0, v2, vcc_lo
	v_add_co_ci_u32_e64 v10, null, 0, v10, s1
	s_andn2_b32 s1, s45, exec_lo
	v_cmp_ge_i32_e32 vcc_lo, v2, v15
	s_and_b32 s45, vcc_lo, exec_lo
	s_or_b32 s45, s1, s45
.LBB15_11:                              ;   in Loop: Header=BB15_12 Depth=3
	s_or_b32 exec_lo, exec_lo, s46
	s_and_b32 s1, exec_lo, s45
	s_or_b32 s44, s1, s44
	s_andn2_b32 exec_lo, exec_lo, s44
	s_cbranch_execz .LBB15_15
.LBB15_12:                              ;   Parent Loop BB15_4 Depth=1
                                        ;     Parent Loop BB15_8 Depth=2
                                        ; =>    This Inner Loop Header: Depth=3
	s_or_b32 s45, s45, exec_lo
	s_mov_b32 s46, exec_lo
	v_cmpx_lt_i32_e64 v10, v20
	s_cbranch_execz .LBB15_11
; %bb.13:                               ;   in Loop: Header=BB15_12 Depth=3
	v_mov_b32_e32 v11, v3
	v_lshlrev_b64 v[25:26], 2, v[2:3]
	s_mov_b32 s1, exec_lo
	v_lshlrev_b64 v[27:28], 2, v[10:11]
	v_add_co_u32 v25, vcc_lo, v16, v25
	v_add_co_ci_u32_e64 v26, null, v17, v26, vcc_lo
	v_add_co_u32 v27, vcc_lo, v21, v27
	v_add_co_ci_u32_e64 v28, null, v22, v28, vcc_lo
	global_load_dword v25, v[25:26], off
	global_load_dword v26, v[27:28], off
	s_waitcnt vmcnt(1)
	v_subrev_nc_u32_e32 v25, s40, v25
	s_waitcnt vmcnt(0)
	v_subrev_nc_u32_e32 v26, s4, v26
	v_cmpx_eq_u32_e64 v25, v26
	s_cbranch_execz .LBB15_10
; %bb.14:                               ;   in Loop: Header=BB15_12 Depth=3
	v_lshlrev_b64 v[27:28], 3, v[2:3]
	v_lshlrev_b64 v[29:30], 3, v[10:11]
	v_add_co_u32 v27, vcc_lo, v18, v27
	v_add_co_ci_u32_e64 v28, null, v19, v28, vcc_lo
	v_add_co_u32 v29, vcc_lo, v23, v29
	v_add_co_ci_u32_e64 v30, null, v24, v30, vcc_lo
	global_load_dwordx2 v[27:28], v[27:28], off
	global_load_dwordx2 v[29:30], v[29:30], off
	s_waitcnt vmcnt(0)
	v_fma_f64 v[12:13], v[27:28], v[29:30], v[12:13]
	s_branch .LBB15_10
.LBB15_15:                              ;   in Loop: Header=BB15_8 Depth=2
	s_or_b32 exec_lo, exec_lo, s44
.LBB15_16:                              ;   in Loop: Header=BB15_8 Depth=2
	s_or_b32 exec_lo, exec_lo, s43
	v_lshlrev_b64 v[21:22], 3, v[4:5]
	v_cmp_le_i32_e64 s1, v1, v7
	s_mov_b32 s43, exec_lo
	v_add_co_u32 v21, vcc_lo, s30, v21
	v_add_co_ci_u32_e64 v22, null, s31, v22, vcc_lo
	global_load_dwordx2 v[21:22], v[21:22], off
	s_waitcnt vmcnt(0)
	v_add_f64 v[11:12], v[21:22], -v[12:13]
	v_cmpx_gt_i32_e64 v1, v7
	s_cbranch_execz .LBB15_18
; %bb.17:                               ;   in Loop: Header=BB15_8 Depth=2
	v_lshlrev_b64 v[21:22], 3, v[7:8]
	v_add_co_u32 v21, vcc_lo, s36, v21
	v_add_co_ci_u32_e64 v22, null, s37, v22, vcc_lo
	global_load_dwordx2 v[21:22], v[21:22], off
	s_waitcnt vmcnt(0)
	v_div_scale_f64 v[23:24], null, v[21:22], v[21:22], v[11:12]
	v_rcp_f64_e32 v[25:26], v[23:24]
	v_fma_f64 v[27:28], -v[23:24], v[25:26], 1.0
	v_fma_f64 v[25:26], v[25:26], v[27:28], v[25:26]
	v_fma_f64 v[27:28], -v[23:24], v[25:26], 1.0
	v_fma_f64 v[25:26], v[25:26], v[27:28], v[25:26]
	v_div_scale_f64 v[27:28], vcc_lo, v[11:12], v[21:22], v[11:12]
	v_mul_f64 v[29:30], v[27:28], v[25:26]
	v_fma_f64 v[23:24], -v[23:24], v[29:30], v[27:28]
	v_div_fmas_f64 v[23:24], v[23:24], v[25:26], v[29:30]
	v_div_fixup_f64 v[11:12], v[23:24], v[21:22], v[11:12]
.LBB15_18:                              ;   in Loop: Header=BB15_8 Depth=2
	s_or_b32 exec_lo, exec_lo, s43
	v_cmp_class_f64_e64 s44, v[11:12], 0x1f8
	s_and_saveexec_b32 s43, s44
	s_cbranch_execz .LBB15_7
; %bb.19:                               ;   in Loop: Header=BB15_8 Depth=2
	s_and_saveexec_b32 s44, s1
	s_xor_b32 s1, exec_lo, s44
	s_cbranch_execz .LBB15_32
; %bb.20:                               ;   in Loop: Header=BB15_8 Depth=2
	s_mov_b32 s44, exec_lo
	v_cmpx_ge_i32_e64 v1, v7
	s_xor_b32 s44, exec_lo, s44
	s_cbranch_execz .LBB15_22
; %bb.21:                               ;   in Loop: Header=BB15_8 Depth=2
	v_lshlrev_b64 v[7:8], 3, v[7:8]
                                        ; implicit-def: $vgpr10
                                        ; implicit-def: $vgpr20
                                        ; implicit-def: $vgpr9
	v_add_co_u32 v7, vcc_lo, s38, v7
	v_add_co_ci_u32_e64 v8, null, s39, v8, vcc_lo
	global_store_dwordx2 v[7:8], v[11:12], off
                                        ; implicit-def: $vgpr11_vgpr12
.LBB15_22:                              ;   in Loop: Header=BB15_8 Depth=2
	s_andn2_saveexec_b32 s44, s44
	s_cbranch_execz .LBB15_31
; %bb.23:                               ;   in Loop: Header=BB15_8 Depth=2
	s_mov_b32 s45, exec_lo
	v_cmpx_lt_i32_e64 v10, v20
	s_cbranch_execz .LBB15_30
; %bb.24:                               ;   in Loop: Header=BB15_8 Depth=2
	s_mov_b32 s46, 0
                                        ; implicit-def: $sgpr47
                                        ; implicit-def: $sgpr49
                                        ; implicit-def: $sgpr48
	s_inst_prefetch 0x1
	s_branch .LBB15_26
	.p2align	6
.LBB15_25:                              ;   in Loop: Header=BB15_26 Depth=3
	s_or_b32 exec_lo, exec_lo, s50
	s_and_b32 s50, exec_lo, s49
	s_or_b32 s46, s50, s46
	s_andn2_b32 s47, s47, exec_lo
	s_and_b32 s50, s48, exec_lo
	s_or_b32 s47, s47, s50
	s_andn2_b32 exec_lo, exec_lo, s46
	s_cbranch_execz .LBB15_28
.LBB15_26:                              ;   Parent Loop BB15_4 Depth=1
                                        ;     Parent Loop BB15_8 Depth=2
                                        ; =>    This Inner Loop Header: Depth=3
	v_add_nc_u32_e32 v7, v9, v10
	s_or_b32 s48, s48, exec_lo
	s_or_b32 s49, s49, exec_lo
	s_mov_b32 s50, exec_lo
	v_ashrrev_i32_e32 v8, 31, v7
	v_lshlrev_b64 v[21:22], 2, v[7:8]
	v_add_co_u32 v21, vcc_lo, s12, v21
	v_add_co_ci_u32_e64 v22, null, s13, v22, vcc_lo
	global_load_dword v2, v[21:22], off
	s_waitcnt vmcnt(0)
	v_subrev_nc_u32_e32 v2, s4, v2
	v_cmpx_ne_u32_e64 v2, v1
	s_cbranch_execz .LBB15_25
; %bb.27:                               ;   in Loop: Header=BB15_26 Depth=3
	v_add_nc_u32_e32 v10, 1, v10
	s_andn2_b32 s49, s49, exec_lo
	s_andn2_b32 s48, s48, exec_lo
	v_cmp_ge_i32_e32 vcc_lo, v10, v20
	s_and_b32 s51, vcc_lo, exec_lo
	s_or_b32 s49, s49, s51
	s_branch .LBB15_25
.LBB15_28:                              ;   in Loop: Header=BB15_8 Depth=2
	s_inst_prefetch 0x2
	s_or_b32 exec_lo, exec_lo, s46
	s_and_saveexec_b32 s46, s47
	s_xor_b32 s46, exec_lo, s46
	s_cbranch_execz .LBB15_30
; %bb.29:                               ;   in Loop: Header=BB15_8 Depth=2
	v_lshlrev_b64 v[7:8], 3, v[7:8]
	v_add_co_u32 v7, vcc_lo, s6, v7
	v_add_co_ci_u32_e64 v8, null, s7, v8, vcc_lo
	global_store_dwordx2 v[7:8], v[11:12], off
.LBB15_30:                              ;   in Loop: Header=BB15_8 Depth=2
	s_or_b32 exec_lo, exec_lo, s45
.LBB15_31:                              ;   in Loop: Header=BB15_8 Depth=2
	s_or_b32 exec_lo, exec_lo, s44
                                        ; implicit-def: $vgpr11_vgpr12
                                        ; implicit-def: $vgpr7_vgpr8
.LBB15_32:                              ;   in Loop: Header=BB15_8 Depth=2
	s_andn2_saveexec_b32 s1, s1
	s_cbranch_execz .LBB15_7
; %bb.33:                               ;   in Loop: Header=BB15_8 Depth=2
	v_cmp_lt_i32_e32 vcc_lo, v2, v15
	s_and_b32 exec_lo, exec_lo, vcc_lo
	s_cbranch_execz .LBB15_7
; %bb.34:                               ;   in Loop: Header=BB15_8 Depth=2
	s_mov_b32 s1, 0
                                        ; implicit-def: $sgpr44
                                        ; implicit-def: $sgpr46
                                        ; implicit-def: $sgpr45
	s_inst_prefetch 0x1
	s_branch .LBB15_36
	.p2align	6
.LBB15_35:                              ;   in Loop: Header=BB15_36 Depth=3
	s_or_b32 exec_lo, exec_lo, s47
	s_and_b32 s47, exec_lo, s46
	s_or_b32 s1, s47, s1
	s_andn2_b32 s44, s44, exec_lo
	s_and_b32 s47, s45, exec_lo
	s_or_b32 s44, s44, s47
	s_andn2_b32 exec_lo, exec_lo, s1
	s_cbranch_execz .LBB15_38
.LBB15_36:                              ;   Parent Loop BB15_4 Depth=1
                                        ;     Parent Loop BB15_8 Depth=2
                                        ; =>    This Inner Loop Header: Depth=3
	v_add_nc_u32_e32 v8, v6, v2
	s_or_b32 s45, s45, exec_lo
	s_or_b32 s46, s46, exec_lo
	s_mov_b32 s47, exec_lo
	v_ashrrev_i32_e32 v9, 31, v8
	v_lshlrev_b64 v[20:21], 2, v[8:9]
	v_add_co_u32 v20, vcc_lo, s20, v20
	v_add_co_ci_u32_e64 v21, null, s21, v21, vcc_lo
	global_load_dword v5, v[20:21], off
	s_waitcnt vmcnt(0)
	v_subrev_nc_u32_e32 v5, s40, v5
	v_cmpx_ne_u32_e64 v5, v7
	s_cbranch_execz .LBB15_35
; %bb.37:                               ;   in Loop: Header=BB15_36 Depth=3
	v_add_nc_u32_e32 v2, 1, v2
	s_andn2_b32 s46, s46, exec_lo
	s_andn2_b32 s45, s45, exec_lo
	v_cmp_ge_i32_e32 vcc_lo, v2, v15
	s_and_b32 s48, vcc_lo, exec_lo
	s_or_b32 s46, s46, s48
	s_branch .LBB15_35
.LBB15_38:                              ;   in Loop: Header=BB15_8 Depth=2
	s_inst_prefetch 0x2
	s_or_b32 exec_lo, exec_lo, s1
	s_and_saveexec_b32 s1, s44
	s_xor_b32 s1, exec_lo, s1
	s_cbranch_execz .LBB15_7
; %bb.39:                               ;   in Loop: Header=BB15_8 Depth=2
	v_lshlrev_b64 v[7:8], 3, v[8:9]
	v_add_co_u32 v7, vcc_lo, s2, v7
	v_add_co_ci_u32_e64 v8, null, s3, v8, vcc_lo
	global_store_dwordx2 v[7:8], v[11:12], off
	s_branch .LBB15_7
.LBB15_40:
	s_endpgm
	.section	.rodata,"a",@progbits
	.p2align	6, 0x0
	.amdhsa_kernel _ZN9rocsparseL17kernel_correctionILi1024ELi2EdiiEEvT3_T2_PKS2_S4_PKS1_PKT1_21rocsparse_index_base_S4_S4_S6_S9_PS7_SA_S4_S4_S6_S9_SB_SA_S9_SB_
		.amdhsa_group_segment_fixed_size 0
		.amdhsa_private_segment_fixed_size 0
		.amdhsa_kernarg_size 160
		.amdhsa_user_sgpr_count 6
		.amdhsa_user_sgpr_private_segment_buffer 1
		.amdhsa_user_sgpr_dispatch_ptr 0
		.amdhsa_user_sgpr_queue_ptr 0
		.amdhsa_user_sgpr_kernarg_segment_ptr 1
		.amdhsa_user_sgpr_dispatch_id 0
		.amdhsa_user_sgpr_flat_scratch_init 0
		.amdhsa_user_sgpr_private_segment_size 0
		.amdhsa_wavefront_size32 1
		.amdhsa_uses_dynamic_stack 0
		.amdhsa_system_sgpr_private_segment_wavefront_offset 0
		.amdhsa_system_sgpr_workgroup_id_x 1
		.amdhsa_system_sgpr_workgroup_id_y 0
		.amdhsa_system_sgpr_workgroup_id_z 0
		.amdhsa_system_sgpr_workgroup_info 0
		.amdhsa_system_vgpr_workitem_id 0
		.amdhsa_next_free_vgpr 31
		.amdhsa_next_free_sgpr 52
		.amdhsa_reserve_vcc 1
		.amdhsa_reserve_flat_scratch 0
		.amdhsa_float_round_mode_32 0
		.amdhsa_float_round_mode_16_64 0
		.amdhsa_float_denorm_mode_32 3
		.amdhsa_float_denorm_mode_16_64 3
		.amdhsa_dx10_clamp 1
		.amdhsa_ieee_mode 1
		.amdhsa_fp16_overflow 0
		.amdhsa_workgroup_processor_mode 1
		.amdhsa_memory_ordered 1
		.amdhsa_forward_progress 1
		.amdhsa_shared_vgpr_count 0
		.amdhsa_exception_fp_ieee_invalid_op 0
		.amdhsa_exception_fp_denorm_src 0
		.amdhsa_exception_fp_ieee_div_zero 0
		.amdhsa_exception_fp_ieee_overflow 0
		.amdhsa_exception_fp_ieee_underflow 0
		.amdhsa_exception_fp_ieee_inexact 0
		.amdhsa_exception_int_div_zero 0
	.end_amdhsa_kernel
	.section	.text._ZN9rocsparseL17kernel_correctionILi1024ELi2EdiiEEvT3_T2_PKS2_S4_PKS1_PKT1_21rocsparse_index_base_S4_S4_S6_S9_PS7_SA_S4_S4_S6_S9_SB_SA_S9_SB_,"axG",@progbits,_ZN9rocsparseL17kernel_correctionILi1024ELi2EdiiEEvT3_T2_PKS2_S4_PKS1_PKT1_21rocsparse_index_base_S4_S4_S6_S9_PS7_SA_S4_S4_S6_S9_SB_SA_S9_SB_,comdat
.Lfunc_end15:
	.size	_ZN9rocsparseL17kernel_correctionILi1024ELi2EdiiEEvT3_T2_PKS2_S4_PKS1_PKT1_21rocsparse_index_base_S4_S4_S6_S9_PS7_SA_S4_S4_S6_S9_SB_SA_S9_SB_, .Lfunc_end15-_ZN9rocsparseL17kernel_correctionILi1024ELi2EdiiEEvT3_T2_PKS2_S4_PKS1_PKT1_21rocsparse_index_base_S4_S4_S6_S9_PS7_SA_S4_S4_S6_S9_SB_SA_S9_SB_
                                        ; -- End function
	.set _ZN9rocsparseL17kernel_correctionILi1024ELi2EdiiEEvT3_T2_PKS2_S4_PKS1_PKT1_21rocsparse_index_base_S4_S4_S6_S9_PS7_SA_S4_S4_S6_S9_SB_SA_S9_SB_.num_vgpr, 31
	.set _ZN9rocsparseL17kernel_correctionILi1024ELi2EdiiEEvT3_T2_PKS2_S4_PKS1_PKT1_21rocsparse_index_base_S4_S4_S6_S9_PS7_SA_S4_S4_S6_S9_SB_SA_S9_SB_.num_agpr, 0
	.set _ZN9rocsparseL17kernel_correctionILi1024ELi2EdiiEEvT3_T2_PKS2_S4_PKS1_PKT1_21rocsparse_index_base_S4_S4_S6_S9_PS7_SA_S4_S4_S6_S9_SB_SA_S9_SB_.numbered_sgpr, 52
	.set _ZN9rocsparseL17kernel_correctionILi1024ELi2EdiiEEvT3_T2_PKS2_S4_PKS1_PKT1_21rocsparse_index_base_S4_S4_S6_S9_PS7_SA_S4_S4_S6_S9_SB_SA_S9_SB_.num_named_barrier, 0
	.set _ZN9rocsparseL17kernel_correctionILi1024ELi2EdiiEEvT3_T2_PKS2_S4_PKS1_PKT1_21rocsparse_index_base_S4_S4_S6_S9_PS7_SA_S4_S4_S6_S9_SB_SA_S9_SB_.private_seg_size, 0
	.set _ZN9rocsparseL17kernel_correctionILi1024ELi2EdiiEEvT3_T2_PKS2_S4_PKS1_PKT1_21rocsparse_index_base_S4_S4_S6_S9_PS7_SA_S4_S4_S6_S9_SB_SA_S9_SB_.uses_vcc, 1
	.set _ZN9rocsparseL17kernel_correctionILi1024ELi2EdiiEEvT3_T2_PKS2_S4_PKS1_PKT1_21rocsparse_index_base_S4_S4_S6_S9_PS7_SA_S4_S4_S6_S9_SB_SA_S9_SB_.uses_flat_scratch, 0
	.set _ZN9rocsparseL17kernel_correctionILi1024ELi2EdiiEEvT3_T2_PKS2_S4_PKS1_PKT1_21rocsparse_index_base_S4_S4_S6_S9_PS7_SA_S4_S4_S6_S9_SB_SA_S9_SB_.has_dyn_sized_stack, 0
	.set _ZN9rocsparseL17kernel_correctionILi1024ELi2EdiiEEvT3_T2_PKS2_S4_PKS1_PKT1_21rocsparse_index_base_S4_S4_S6_S9_PS7_SA_S4_S4_S6_S9_SB_SA_S9_SB_.has_recursion, 0
	.set _ZN9rocsparseL17kernel_correctionILi1024ELi2EdiiEEvT3_T2_PKS2_S4_PKS1_PKT1_21rocsparse_index_base_S4_S4_S6_S9_PS7_SA_S4_S4_S6_S9_SB_SA_S9_SB_.has_indirect_call, 0
	.section	.AMDGPU.csdata,"",@progbits
; Kernel info:
; codeLenInByte = 1728
; TotalNumSgprs: 54
; NumVgprs: 31
; ScratchSize: 0
; MemoryBound: 1
; FloatMode: 240
; IeeeMode: 1
; LDSByteSize: 0 bytes/workgroup (compile time only)
; SGPRBlocks: 0
; VGPRBlocks: 3
; NumSGPRsForWavesPerEU: 54
; NumVGPRsForWavesPerEU: 31
; Occupancy: 16
; WaveLimiterHint : 1
; COMPUTE_PGM_RSRC2:SCRATCH_EN: 0
; COMPUTE_PGM_RSRC2:USER_SGPR: 6
; COMPUTE_PGM_RSRC2:TRAP_HANDLER: 0
; COMPUTE_PGM_RSRC2:TGID_X_EN: 1
; COMPUTE_PGM_RSRC2:TGID_Y_EN: 0
; COMPUTE_PGM_RSRC2:TGID_Z_EN: 0
; COMPUTE_PGM_RSRC2:TIDIG_COMP_CNT: 0
	.section	.text._ZN9rocsparseL17kernel_correctionILi1024ELi4EdiiEEvT3_T2_PKS2_S4_PKS1_PKT1_21rocsparse_index_base_S4_S4_S6_S9_PS7_SA_S4_S4_S6_S9_SB_SA_S9_SB_,"axG",@progbits,_ZN9rocsparseL17kernel_correctionILi1024ELi4EdiiEEvT3_T2_PKS2_S4_PKS1_PKT1_21rocsparse_index_base_S4_S4_S6_S9_PS7_SA_S4_S4_S6_S9_SB_SA_S9_SB_,comdat
	.globl	_ZN9rocsparseL17kernel_correctionILi1024ELi4EdiiEEvT3_T2_PKS2_S4_PKS1_PKT1_21rocsparse_index_base_S4_S4_S6_S9_PS7_SA_S4_S4_S6_S9_SB_SA_S9_SB_ ; -- Begin function _ZN9rocsparseL17kernel_correctionILi1024ELi4EdiiEEvT3_T2_PKS2_S4_PKS1_PKT1_21rocsparse_index_base_S4_S4_S6_S9_PS7_SA_S4_S4_S6_S9_SB_SA_S9_SB_
	.p2align	8
	.type	_ZN9rocsparseL17kernel_correctionILi1024ELi4EdiiEEvT3_T2_PKS2_S4_PKS1_PKT1_21rocsparse_index_base_S4_S4_S6_S9_PS7_SA_S4_S4_S6_S9_SB_SA_S9_SB_,@function
_ZN9rocsparseL17kernel_correctionILi1024ELi4EdiiEEvT3_T2_PKS2_S4_PKS1_PKT1_21rocsparse_index_base_S4_S4_S6_S9_PS7_SA_S4_S4_S6_S9_SB_SA_S9_SB_: ; @_ZN9rocsparseL17kernel_correctionILi1024ELi4EdiiEEvT3_T2_PKS2_S4_PKS1_PKT1_21rocsparse_index_base_S4_S4_S6_S9_PS7_SA_S4_S4_S6_S9_SB_SA_S9_SB_
; %bb.0:
	s_load_dword s33, s[4:5], 0x0
	v_lshrrev_b32_e32 v1, 2, v0
	s_lshl_b32 s34, s6, 10
	s_mov_b32 s0, exec_lo
	v_or_b32_e32 v1, s34, v1
	s_waitcnt lgkmcnt(0)
	v_cmpx_gt_i32_e64 s33, v1
	s_cbranch_execz .LBB16_40
; %bb.1:
	s_addk_i32 s34, 0x400
	v_cmp_gt_u32_e32 vcc_lo, s34, v1
	s_and_b32 exec_lo, exec_lo, vcc_lo
	s_cbranch_execz .LBB16_40
; %bb.2:
	s_clause 0x8
	s_load_dwordx4 s[36:39], s[4:5], 0x90
	s_load_dwordx8 s[8:15], s[4:5], 0x60
	s_load_dword s35, s[4:5], 0x28
	s_load_dwordx8 s[16:23], s[4:5], 0x30
	s_load_dwordx8 s[24:31], s[4:5], 0x8
	s_load_dwordx2 s[2:3], s[4:5], 0x50
	s_load_dword s40, s[4:5], 0x58
	s_load_dwordx2 s[6:7], s[4:5], 0x80
	s_load_dword s4, s[4:5], 0x88
	v_and_b32_e32 v0, 3, v0
	v_mov_b32_e32 v3, 0
	s_mov_b32 s5, 0
	s_waitcnt lgkmcnt(0)
	v_subrev_nc_u32_e32 v0, s35, v0
	s_branch .LBB16_4
.LBB16_3:                               ;   in Loop: Header=BB16_4 Depth=1
	s_or_b32 exec_lo, exec_lo, s41
	v_add_nc_u32_e32 v1, 0x100, v1
	v_cmp_le_u32_e32 vcc_lo, s34, v1
	s_or_b32 s5, vcc_lo, s5
	s_andn2_b32 exec_lo, exec_lo, s5
	s_cbranch_execz .LBB16_40
.LBB16_4:                               ; =>This Loop Header: Depth=1
                                        ;     Child Loop BB16_8 Depth 2
                                        ;       Child Loop BB16_12 Depth 3
                                        ;       Child Loop BB16_26 Depth 3
	;; [unrolled: 1-line block ×3, first 2 shown]
	s_mov_b32 s41, exec_lo
	v_cmpx_gt_i32_e64 s33, v1
	s_cbranch_execz .LBB16_3
; %bb.5:                                ;   in Loop: Header=BB16_4 Depth=1
	v_ashrrev_i32_e32 v2, 31, v1
	v_lshlrev_b64 v[5:6], 2, v[1:2]
	v_add_co_u32 v7, vcc_lo, s24, v5
	v_add_co_ci_u32_e64 v8, null, s25, v6, vcc_lo
	v_add_co_u32 v9, vcc_lo, s26, v5
	v_add_co_ci_u32_e64 v10, null, s27, v6, vcc_lo
	global_load_dword v2, v[7:8], off
	global_load_dword v7, v[9:10], off
	s_waitcnt vmcnt(1)
	v_add_nc_u32_e32 v4, v0, v2
	s_waitcnt vmcnt(0)
	v_subrev_nc_u32_e32 v14, s35, v7
	v_cmp_lt_i32_e32 vcc_lo, v4, v14
	s_and_b32 exec_lo, exec_lo, vcc_lo
	s_cbranch_execz .LBB16_3
; %bb.6:                                ;   in Loop: Header=BB16_4 Depth=1
	v_add_co_u32 v7, vcc_lo, s16, v5
	v_add_co_ci_u32_e64 v8, null, s17, v6, vcc_lo
	v_add_co_u32 v5, vcc_lo, s18, v5
	v_add_co_ci_u32_e64 v6, null, s19, v6, vcc_lo
	global_load_dword v2, v[7:8], off
	s_mov_b32 s42, 0
	global_load_dword v5, v[5:6], off
	s_waitcnt vmcnt(1)
	v_subrev_nc_u32_e32 v6, s40, v2
	s_waitcnt vmcnt(0)
	v_sub_nc_u32_e32 v15, v5, v2
	v_ashrrev_i32_e32 v7, 31, v6
	v_cmp_lt_i32_e64 s0, 0, v15
	v_lshlrev_b64 v[8:9], 2, v[6:7]
	v_lshlrev_b64 v[10:11], 3, v[6:7]
	v_add_co_u32 v16, vcc_lo, s20, v8
	v_add_co_ci_u32_e64 v17, null, s21, v9, vcc_lo
	v_add_co_u32 v18, vcc_lo, s22, v10
	v_add_co_ci_u32_e64 v19, null, s23, v11, vcc_lo
	s_branch .LBB16_8
.LBB16_7:                               ;   in Loop: Header=BB16_8 Depth=2
	s_or_b32 exec_lo, exec_lo, s43
	v_add_nc_u32_e32 v4, 4, v4
	v_cmp_ge_i32_e32 vcc_lo, v4, v14
	s_or_b32 s42, vcc_lo, s42
	s_andn2_b32 exec_lo, exec_lo, s42
	s_cbranch_execz .LBB16_3
.LBB16_8:                               ;   Parent Loop BB16_4 Depth=1
                                        ; =>  This Loop Header: Depth=2
                                        ;       Child Loop BB16_12 Depth 3
                                        ;       Child Loop BB16_26 Depth 3
	;; [unrolled: 1-line block ×3, first 2 shown]
	v_ashrrev_i32_e32 v5, 31, v4
	v_lshlrev_b64 v[7:8], 2, v[4:5]
	v_add_co_u32 v7, vcc_lo, s28, v7
	v_add_co_ci_u32_e64 v8, null, s29, v8, vcc_lo
	global_load_dword v2, v[7:8], off
	s_waitcnt vmcnt(0)
	v_subrev_nc_u32_e32 v7, s35, v2
	v_ashrrev_i32_e32 v8, 31, v7
	v_lshlrev_b64 v[9:10], 2, v[7:8]
	v_add_co_u32 v11, vcc_lo, s8, v9
	v_add_co_ci_u32_e64 v12, null, s9, v10, vcc_lo
	v_add_co_u32 v9, vcc_lo, s10, v9
	v_add_co_ci_u32_e64 v10, null, s11, v10, vcc_lo
	global_load_dword v2, v[11:12], off
	global_load_dword v11, v[9:10], off
	v_mov_b32_e32 v10, 0
	v_mov_b32_e32 v12, 0
	;; [unrolled: 1-line block ×3, first 2 shown]
	s_waitcnt vmcnt(1)
	v_subrev_nc_u32_e32 v9, s4, v2
	s_waitcnt vmcnt(0)
	v_sub_nc_u32_e32 v20, v11, v2
	v_mov_b32_e32 v2, v10
	s_and_saveexec_b32 s43, s0
	s_cbranch_execz .LBB16_16
; %bb.9:                                ;   in Loop: Header=BB16_8 Depth=2
	v_ashrrev_i32_e32 v10, 31, v9
	v_mov_b32_e32 v12, 0
	v_mov_b32_e32 v13, 0
	;; [unrolled: 1-line block ×3, first 2 shown]
	s_mov_b32 s44, 0
	v_lshlrev_b64 v[21:22], 2, v[9:10]
	v_lshlrev_b64 v[10:11], 3, v[9:10]
                                        ; implicit-def: $sgpr45
	v_add_co_u32 v21, vcc_lo, s12, v21
	v_add_co_ci_u32_e64 v22, null, s13, v22, vcc_lo
	v_add_co_u32 v23, vcc_lo, s14, v10
	v_add_co_ci_u32_e64 v24, null, s15, v11, vcc_lo
	v_mov_b32_e32 v10, 0
	s_branch .LBB16_12
.LBB16_10:                              ;   in Loop: Header=BB16_12 Depth=3
	s_or_b32 exec_lo, exec_lo, s1
	v_cmp_le_i32_e32 vcc_lo, v25, v26
	v_cmp_ge_i32_e64 s1, v25, v26
	v_add_co_ci_u32_e64 v2, null, 0, v2, vcc_lo
	v_add_co_ci_u32_e64 v10, null, 0, v10, s1
	s_andn2_b32 s1, s45, exec_lo
	v_cmp_ge_i32_e32 vcc_lo, v2, v15
	s_and_b32 s45, vcc_lo, exec_lo
	s_or_b32 s45, s1, s45
.LBB16_11:                              ;   in Loop: Header=BB16_12 Depth=3
	s_or_b32 exec_lo, exec_lo, s46
	s_and_b32 s1, exec_lo, s45
	s_or_b32 s44, s1, s44
	s_andn2_b32 exec_lo, exec_lo, s44
	s_cbranch_execz .LBB16_15
.LBB16_12:                              ;   Parent Loop BB16_4 Depth=1
                                        ;     Parent Loop BB16_8 Depth=2
                                        ; =>    This Inner Loop Header: Depth=3
	s_or_b32 s45, s45, exec_lo
	s_mov_b32 s46, exec_lo
	v_cmpx_lt_i32_e64 v10, v20
	s_cbranch_execz .LBB16_11
; %bb.13:                               ;   in Loop: Header=BB16_12 Depth=3
	v_mov_b32_e32 v11, v3
	v_lshlrev_b64 v[25:26], 2, v[2:3]
	s_mov_b32 s1, exec_lo
	v_lshlrev_b64 v[27:28], 2, v[10:11]
	v_add_co_u32 v25, vcc_lo, v16, v25
	v_add_co_ci_u32_e64 v26, null, v17, v26, vcc_lo
	v_add_co_u32 v27, vcc_lo, v21, v27
	v_add_co_ci_u32_e64 v28, null, v22, v28, vcc_lo
	global_load_dword v25, v[25:26], off
	global_load_dword v26, v[27:28], off
	s_waitcnt vmcnt(1)
	v_subrev_nc_u32_e32 v25, s40, v25
	s_waitcnt vmcnt(0)
	v_subrev_nc_u32_e32 v26, s4, v26
	v_cmpx_eq_u32_e64 v25, v26
	s_cbranch_execz .LBB16_10
; %bb.14:                               ;   in Loop: Header=BB16_12 Depth=3
	v_lshlrev_b64 v[27:28], 3, v[2:3]
	v_lshlrev_b64 v[29:30], 3, v[10:11]
	v_add_co_u32 v27, vcc_lo, v18, v27
	v_add_co_ci_u32_e64 v28, null, v19, v28, vcc_lo
	v_add_co_u32 v29, vcc_lo, v23, v29
	v_add_co_ci_u32_e64 v30, null, v24, v30, vcc_lo
	global_load_dwordx2 v[27:28], v[27:28], off
	global_load_dwordx2 v[29:30], v[29:30], off
	s_waitcnt vmcnt(0)
	v_fma_f64 v[12:13], v[27:28], v[29:30], v[12:13]
	s_branch .LBB16_10
.LBB16_15:                              ;   in Loop: Header=BB16_8 Depth=2
	s_or_b32 exec_lo, exec_lo, s44
.LBB16_16:                              ;   in Loop: Header=BB16_8 Depth=2
	s_or_b32 exec_lo, exec_lo, s43
	v_lshlrev_b64 v[21:22], 3, v[4:5]
	v_cmp_le_i32_e64 s1, v1, v7
	s_mov_b32 s43, exec_lo
	v_add_co_u32 v21, vcc_lo, s30, v21
	v_add_co_ci_u32_e64 v22, null, s31, v22, vcc_lo
	global_load_dwordx2 v[21:22], v[21:22], off
	s_waitcnt vmcnt(0)
	v_add_f64 v[11:12], v[21:22], -v[12:13]
	v_cmpx_gt_i32_e64 v1, v7
	s_cbranch_execz .LBB16_18
; %bb.17:                               ;   in Loop: Header=BB16_8 Depth=2
	v_lshlrev_b64 v[21:22], 3, v[7:8]
	v_add_co_u32 v21, vcc_lo, s36, v21
	v_add_co_ci_u32_e64 v22, null, s37, v22, vcc_lo
	global_load_dwordx2 v[21:22], v[21:22], off
	s_waitcnt vmcnt(0)
	v_div_scale_f64 v[23:24], null, v[21:22], v[21:22], v[11:12]
	v_rcp_f64_e32 v[25:26], v[23:24]
	v_fma_f64 v[27:28], -v[23:24], v[25:26], 1.0
	v_fma_f64 v[25:26], v[25:26], v[27:28], v[25:26]
	v_fma_f64 v[27:28], -v[23:24], v[25:26], 1.0
	v_fma_f64 v[25:26], v[25:26], v[27:28], v[25:26]
	v_div_scale_f64 v[27:28], vcc_lo, v[11:12], v[21:22], v[11:12]
	v_mul_f64 v[29:30], v[27:28], v[25:26]
	v_fma_f64 v[23:24], -v[23:24], v[29:30], v[27:28]
	v_div_fmas_f64 v[23:24], v[23:24], v[25:26], v[29:30]
	v_div_fixup_f64 v[11:12], v[23:24], v[21:22], v[11:12]
.LBB16_18:                              ;   in Loop: Header=BB16_8 Depth=2
	s_or_b32 exec_lo, exec_lo, s43
	v_cmp_class_f64_e64 s44, v[11:12], 0x1f8
	s_and_saveexec_b32 s43, s44
	s_cbranch_execz .LBB16_7
; %bb.19:                               ;   in Loop: Header=BB16_8 Depth=2
	s_and_saveexec_b32 s44, s1
	s_xor_b32 s1, exec_lo, s44
	s_cbranch_execz .LBB16_32
; %bb.20:                               ;   in Loop: Header=BB16_8 Depth=2
	s_mov_b32 s44, exec_lo
	v_cmpx_ge_i32_e64 v1, v7
	s_xor_b32 s44, exec_lo, s44
	s_cbranch_execz .LBB16_22
; %bb.21:                               ;   in Loop: Header=BB16_8 Depth=2
	v_lshlrev_b64 v[7:8], 3, v[7:8]
                                        ; implicit-def: $vgpr10
                                        ; implicit-def: $vgpr20
                                        ; implicit-def: $vgpr9
	v_add_co_u32 v7, vcc_lo, s38, v7
	v_add_co_ci_u32_e64 v8, null, s39, v8, vcc_lo
	global_store_dwordx2 v[7:8], v[11:12], off
                                        ; implicit-def: $vgpr11_vgpr12
.LBB16_22:                              ;   in Loop: Header=BB16_8 Depth=2
	s_andn2_saveexec_b32 s44, s44
	s_cbranch_execz .LBB16_31
; %bb.23:                               ;   in Loop: Header=BB16_8 Depth=2
	s_mov_b32 s45, exec_lo
	v_cmpx_lt_i32_e64 v10, v20
	s_cbranch_execz .LBB16_30
; %bb.24:                               ;   in Loop: Header=BB16_8 Depth=2
	s_mov_b32 s46, 0
                                        ; implicit-def: $sgpr47
                                        ; implicit-def: $sgpr49
                                        ; implicit-def: $sgpr48
	s_inst_prefetch 0x1
	s_branch .LBB16_26
	.p2align	6
.LBB16_25:                              ;   in Loop: Header=BB16_26 Depth=3
	s_or_b32 exec_lo, exec_lo, s50
	s_and_b32 s50, exec_lo, s49
	s_or_b32 s46, s50, s46
	s_andn2_b32 s47, s47, exec_lo
	s_and_b32 s50, s48, exec_lo
	s_or_b32 s47, s47, s50
	s_andn2_b32 exec_lo, exec_lo, s46
	s_cbranch_execz .LBB16_28
.LBB16_26:                              ;   Parent Loop BB16_4 Depth=1
                                        ;     Parent Loop BB16_8 Depth=2
                                        ; =>    This Inner Loop Header: Depth=3
	v_add_nc_u32_e32 v7, v9, v10
	s_or_b32 s48, s48, exec_lo
	s_or_b32 s49, s49, exec_lo
	s_mov_b32 s50, exec_lo
	v_ashrrev_i32_e32 v8, 31, v7
	v_lshlrev_b64 v[21:22], 2, v[7:8]
	v_add_co_u32 v21, vcc_lo, s12, v21
	v_add_co_ci_u32_e64 v22, null, s13, v22, vcc_lo
	global_load_dword v2, v[21:22], off
	s_waitcnt vmcnt(0)
	v_subrev_nc_u32_e32 v2, s4, v2
	v_cmpx_ne_u32_e64 v2, v1
	s_cbranch_execz .LBB16_25
; %bb.27:                               ;   in Loop: Header=BB16_26 Depth=3
	v_add_nc_u32_e32 v10, 1, v10
	s_andn2_b32 s49, s49, exec_lo
	s_andn2_b32 s48, s48, exec_lo
	v_cmp_ge_i32_e32 vcc_lo, v10, v20
	s_and_b32 s51, vcc_lo, exec_lo
	s_or_b32 s49, s49, s51
	s_branch .LBB16_25
.LBB16_28:                              ;   in Loop: Header=BB16_8 Depth=2
	s_inst_prefetch 0x2
	s_or_b32 exec_lo, exec_lo, s46
	s_and_saveexec_b32 s46, s47
	s_xor_b32 s46, exec_lo, s46
	s_cbranch_execz .LBB16_30
; %bb.29:                               ;   in Loop: Header=BB16_8 Depth=2
	v_lshlrev_b64 v[7:8], 3, v[7:8]
	v_add_co_u32 v7, vcc_lo, s6, v7
	v_add_co_ci_u32_e64 v8, null, s7, v8, vcc_lo
	global_store_dwordx2 v[7:8], v[11:12], off
.LBB16_30:                              ;   in Loop: Header=BB16_8 Depth=2
	s_or_b32 exec_lo, exec_lo, s45
.LBB16_31:                              ;   in Loop: Header=BB16_8 Depth=2
	s_or_b32 exec_lo, exec_lo, s44
                                        ; implicit-def: $vgpr11_vgpr12
                                        ; implicit-def: $vgpr7_vgpr8
.LBB16_32:                              ;   in Loop: Header=BB16_8 Depth=2
	s_andn2_saveexec_b32 s1, s1
	s_cbranch_execz .LBB16_7
; %bb.33:                               ;   in Loop: Header=BB16_8 Depth=2
	v_cmp_lt_i32_e32 vcc_lo, v2, v15
	s_and_b32 exec_lo, exec_lo, vcc_lo
	s_cbranch_execz .LBB16_7
; %bb.34:                               ;   in Loop: Header=BB16_8 Depth=2
	s_mov_b32 s1, 0
                                        ; implicit-def: $sgpr44
                                        ; implicit-def: $sgpr46
                                        ; implicit-def: $sgpr45
	s_inst_prefetch 0x1
	s_branch .LBB16_36
	.p2align	6
.LBB16_35:                              ;   in Loop: Header=BB16_36 Depth=3
	s_or_b32 exec_lo, exec_lo, s47
	s_and_b32 s47, exec_lo, s46
	s_or_b32 s1, s47, s1
	s_andn2_b32 s44, s44, exec_lo
	s_and_b32 s47, s45, exec_lo
	s_or_b32 s44, s44, s47
	s_andn2_b32 exec_lo, exec_lo, s1
	s_cbranch_execz .LBB16_38
.LBB16_36:                              ;   Parent Loop BB16_4 Depth=1
                                        ;     Parent Loop BB16_8 Depth=2
                                        ; =>    This Inner Loop Header: Depth=3
	v_add_nc_u32_e32 v8, v6, v2
	s_or_b32 s45, s45, exec_lo
	s_or_b32 s46, s46, exec_lo
	s_mov_b32 s47, exec_lo
	v_ashrrev_i32_e32 v9, 31, v8
	v_lshlrev_b64 v[20:21], 2, v[8:9]
	v_add_co_u32 v20, vcc_lo, s20, v20
	v_add_co_ci_u32_e64 v21, null, s21, v21, vcc_lo
	global_load_dword v5, v[20:21], off
	s_waitcnt vmcnt(0)
	v_subrev_nc_u32_e32 v5, s40, v5
	v_cmpx_ne_u32_e64 v5, v7
	s_cbranch_execz .LBB16_35
; %bb.37:                               ;   in Loop: Header=BB16_36 Depth=3
	v_add_nc_u32_e32 v2, 1, v2
	s_andn2_b32 s46, s46, exec_lo
	s_andn2_b32 s45, s45, exec_lo
	v_cmp_ge_i32_e32 vcc_lo, v2, v15
	s_and_b32 s48, vcc_lo, exec_lo
	s_or_b32 s46, s46, s48
	s_branch .LBB16_35
.LBB16_38:                              ;   in Loop: Header=BB16_8 Depth=2
	s_inst_prefetch 0x2
	s_or_b32 exec_lo, exec_lo, s1
	s_and_saveexec_b32 s1, s44
	s_xor_b32 s1, exec_lo, s1
	s_cbranch_execz .LBB16_7
; %bb.39:                               ;   in Loop: Header=BB16_8 Depth=2
	v_lshlrev_b64 v[7:8], 3, v[8:9]
	v_add_co_u32 v7, vcc_lo, s2, v7
	v_add_co_ci_u32_e64 v8, null, s3, v8, vcc_lo
	global_store_dwordx2 v[7:8], v[11:12], off
	s_branch .LBB16_7
.LBB16_40:
	s_endpgm
	.section	.rodata,"a",@progbits
	.p2align	6, 0x0
	.amdhsa_kernel _ZN9rocsparseL17kernel_correctionILi1024ELi4EdiiEEvT3_T2_PKS2_S4_PKS1_PKT1_21rocsparse_index_base_S4_S4_S6_S9_PS7_SA_S4_S4_S6_S9_SB_SA_S9_SB_
		.amdhsa_group_segment_fixed_size 0
		.amdhsa_private_segment_fixed_size 0
		.amdhsa_kernarg_size 160
		.amdhsa_user_sgpr_count 6
		.amdhsa_user_sgpr_private_segment_buffer 1
		.amdhsa_user_sgpr_dispatch_ptr 0
		.amdhsa_user_sgpr_queue_ptr 0
		.amdhsa_user_sgpr_kernarg_segment_ptr 1
		.amdhsa_user_sgpr_dispatch_id 0
		.amdhsa_user_sgpr_flat_scratch_init 0
		.amdhsa_user_sgpr_private_segment_size 0
		.amdhsa_wavefront_size32 1
		.amdhsa_uses_dynamic_stack 0
		.amdhsa_system_sgpr_private_segment_wavefront_offset 0
		.amdhsa_system_sgpr_workgroup_id_x 1
		.amdhsa_system_sgpr_workgroup_id_y 0
		.amdhsa_system_sgpr_workgroup_id_z 0
		.amdhsa_system_sgpr_workgroup_info 0
		.amdhsa_system_vgpr_workitem_id 0
		.amdhsa_next_free_vgpr 31
		.amdhsa_next_free_sgpr 52
		.amdhsa_reserve_vcc 1
		.amdhsa_reserve_flat_scratch 0
		.amdhsa_float_round_mode_32 0
		.amdhsa_float_round_mode_16_64 0
		.amdhsa_float_denorm_mode_32 3
		.amdhsa_float_denorm_mode_16_64 3
		.amdhsa_dx10_clamp 1
		.amdhsa_ieee_mode 1
		.amdhsa_fp16_overflow 0
		.amdhsa_workgroup_processor_mode 1
		.amdhsa_memory_ordered 1
		.amdhsa_forward_progress 1
		.amdhsa_shared_vgpr_count 0
		.amdhsa_exception_fp_ieee_invalid_op 0
		.amdhsa_exception_fp_denorm_src 0
		.amdhsa_exception_fp_ieee_div_zero 0
		.amdhsa_exception_fp_ieee_overflow 0
		.amdhsa_exception_fp_ieee_underflow 0
		.amdhsa_exception_fp_ieee_inexact 0
		.amdhsa_exception_int_div_zero 0
	.end_amdhsa_kernel
	.section	.text._ZN9rocsparseL17kernel_correctionILi1024ELi4EdiiEEvT3_T2_PKS2_S4_PKS1_PKT1_21rocsparse_index_base_S4_S4_S6_S9_PS7_SA_S4_S4_S6_S9_SB_SA_S9_SB_,"axG",@progbits,_ZN9rocsparseL17kernel_correctionILi1024ELi4EdiiEEvT3_T2_PKS2_S4_PKS1_PKT1_21rocsparse_index_base_S4_S4_S6_S9_PS7_SA_S4_S4_S6_S9_SB_SA_S9_SB_,comdat
.Lfunc_end16:
	.size	_ZN9rocsparseL17kernel_correctionILi1024ELi4EdiiEEvT3_T2_PKS2_S4_PKS1_PKT1_21rocsparse_index_base_S4_S4_S6_S9_PS7_SA_S4_S4_S6_S9_SB_SA_S9_SB_, .Lfunc_end16-_ZN9rocsparseL17kernel_correctionILi1024ELi4EdiiEEvT3_T2_PKS2_S4_PKS1_PKT1_21rocsparse_index_base_S4_S4_S6_S9_PS7_SA_S4_S4_S6_S9_SB_SA_S9_SB_
                                        ; -- End function
	.set _ZN9rocsparseL17kernel_correctionILi1024ELi4EdiiEEvT3_T2_PKS2_S4_PKS1_PKT1_21rocsparse_index_base_S4_S4_S6_S9_PS7_SA_S4_S4_S6_S9_SB_SA_S9_SB_.num_vgpr, 31
	.set _ZN9rocsparseL17kernel_correctionILi1024ELi4EdiiEEvT3_T2_PKS2_S4_PKS1_PKT1_21rocsparse_index_base_S4_S4_S6_S9_PS7_SA_S4_S4_S6_S9_SB_SA_S9_SB_.num_agpr, 0
	.set _ZN9rocsparseL17kernel_correctionILi1024ELi4EdiiEEvT3_T2_PKS2_S4_PKS1_PKT1_21rocsparse_index_base_S4_S4_S6_S9_PS7_SA_S4_S4_S6_S9_SB_SA_S9_SB_.numbered_sgpr, 52
	.set _ZN9rocsparseL17kernel_correctionILi1024ELi4EdiiEEvT3_T2_PKS2_S4_PKS1_PKT1_21rocsparse_index_base_S4_S4_S6_S9_PS7_SA_S4_S4_S6_S9_SB_SA_S9_SB_.num_named_barrier, 0
	.set _ZN9rocsparseL17kernel_correctionILi1024ELi4EdiiEEvT3_T2_PKS2_S4_PKS1_PKT1_21rocsparse_index_base_S4_S4_S6_S9_PS7_SA_S4_S4_S6_S9_SB_SA_S9_SB_.private_seg_size, 0
	.set _ZN9rocsparseL17kernel_correctionILi1024ELi4EdiiEEvT3_T2_PKS2_S4_PKS1_PKT1_21rocsparse_index_base_S4_S4_S6_S9_PS7_SA_S4_S4_S6_S9_SB_SA_S9_SB_.uses_vcc, 1
	.set _ZN9rocsparseL17kernel_correctionILi1024ELi4EdiiEEvT3_T2_PKS2_S4_PKS1_PKT1_21rocsparse_index_base_S4_S4_S6_S9_PS7_SA_S4_S4_S6_S9_SB_SA_S9_SB_.uses_flat_scratch, 0
	.set _ZN9rocsparseL17kernel_correctionILi1024ELi4EdiiEEvT3_T2_PKS2_S4_PKS1_PKT1_21rocsparse_index_base_S4_S4_S6_S9_PS7_SA_S4_S4_S6_S9_SB_SA_S9_SB_.has_dyn_sized_stack, 0
	.set _ZN9rocsparseL17kernel_correctionILi1024ELi4EdiiEEvT3_T2_PKS2_S4_PKS1_PKT1_21rocsparse_index_base_S4_S4_S6_S9_PS7_SA_S4_S4_S6_S9_SB_SA_S9_SB_.has_recursion, 0
	.set _ZN9rocsparseL17kernel_correctionILi1024ELi4EdiiEEvT3_T2_PKS2_S4_PKS1_PKT1_21rocsparse_index_base_S4_S4_S6_S9_PS7_SA_S4_S4_S6_S9_SB_SA_S9_SB_.has_indirect_call, 0
	.section	.AMDGPU.csdata,"",@progbits
; Kernel info:
; codeLenInByte = 1728
; TotalNumSgprs: 54
; NumVgprs: 31
; ScratchSize: 0
; MemoryBound: 1
; FloatMode: 240
; IeeeMode: 1
; LDSByteSize: 0 bytes/workgroup (compile time only)
; SGPRBlocks: 0
; VGPRBlocks: 3
; NumSGPRsForWavesPerEU: 54
; NumVGPRsForWavesPerEU: 31
; Occupancy: 16
; WaveLimiterHint : 1
; COMPUTE_PGM_RSRC2:SCRATCH_EN: 0
; COMPUTE_PGM_RSRC2:USER_SGPR: 6
; COMPUTE_PGM_RSRC2:TRAP_HANDLER: 0
; COMPUTE_PGM_RSRC2:TGID_X_EN: 1
; COMPUTE_PGM_RSRC2:TGID_Y_EN: 0
; COMPUTE_PGM_RSRC2:TGID_Z_EN: 0
; COMPUTE_PGM_RSRC2:TIDIG_COMP_CNT: 0
	.section	.text._ZN9rocsparseL17kernel_correctionILi1024ELi8EdiiEEvT3_T2_PKS2_S4_PKS1_PKT1_21rocsparse_index_base_S4_S4_S6_S9_PS7_SA_S4_S4_S6_S9_SB_SA_S9_SB_,"axG",@progbits,_ZN9rocsparseL17kernel_correctionILi1024ELi8EdiiEEvT3_T2_PKS2_S4_PKS1_PKT1_21rocsparse_index_base_S4_S4_S6_S9_PS7_SA_S4_S4_S6_S9_SB_SA_S9_SB_,comdat
	.globl	_ZN9rocsparseL17kernel_correctionILi1024ELi8EdiiEEvT3_T2_PKS2_S4_PKS1_PKT1_21rocsparse_index_base_S4_S4_S6_S9_PS7_SA_S4_S4_S6_S9_SB_SA_S9_SB_ ; -- Begin function _ZN9rocsparseL17kernel_correctionILi1024ELi8EdiiEEvT3_T2_PKS2_S4_PKS1_PKT1_21rocsparse_index_base_S4_S4_S6_S9_PS7_SA_S4_S4_S6_S9_SB_SA_S9_SB_
	.p2align	8
	.type	_ZN9rocsparseL17kernel_correctionILi1024ELi8EdiiEEvT3_T2_PKS2_S4_PKS1_PKT1_21rocsparse_index_base_S4_S4_S6_S9_PS7_SA_S4_S4_S6_S9_SB_SA_S9_SB_,@function
_ZN9rocsparseL17kernel_correctionILi1024ELi8EdiiEEvT3_T2_PKS2_S4_PKS1_PKT1_21rocsparse_index_base_S4_S4_S6_S9_PS7_SA_S4_S4_S6_S9_SB_SA_S9_SB_: ; @_ZN9rocsparseL17kernel_correctionILi1024ELi8EdiiEEvT3_T2_PKS2_S4_PKS1_PKT1_21rocsparse_index_base_S4_S4_S6_S9_PS7_SA_S4_S4_S6_S9_SB_SA_S9_SB_
; %bb.0:
	s_load_dword s33, s[4:5], 0x0
	v_lshrrev_b32_e32 v1, 3, v0
	s_lshl_b32 s34, s6, 10
	s_mov_b32 s0, exec_lo
	v_or_b32_e32 v1, s34, v1
	s_waitcnt lgkmcnt(0)
	v_cmpx_gt_i32_e64 s33, v1
	s_cbranch_execz .LBB17_40
; %bb.1:
	s_addk_i32 s34, 0x400
	v_cmp_gt_u32_e32 vcc_lo, s34, v1
	s_and_b32 exec_lo, exec_lo, vcc_lo
	s_cbranch_execz .LBB17_40
; %bb.2:
	s_clause 0x8
	s_load_dwordx4 s[36:39], s[4:5], 0x90
	s_load_dwordx8 s[8:15], s[4:5], 0x60
	s_load_dword s35, s[4:5], 0x28
	s_load_dwordx8 s[16:23], s[4:5], 0x30
	s_load_dwordx8 s[24:31], s[4:5], 0x8
	s_load_dwordx2 s[2:3], s[4:5], 0x50
	s_load_dword s40, s[4:5], 0x58
	s_load_dwordx2 s[6:7], s[4:5], 0x80
	s_load_dword s4, s[4:5], 0x88
	v_and_b32_e32 v0, 7, v0
	v_mov_b32_e32 v3, 0
	s_mov_b32 s5, 0
	s_waitcnt lgkmcnt(0)
	v_subrev_nc_u32_e32 v0, s35, v0
	s_branch .LBB17_4
.LBB17_3:                               ;   in Loop: Header=BB17_4 Depth=1
	s_or_b32 exec_lo, exec_lo, s41
	v_add_nc_u32_e32 v1, 0x80, v1
	v_cmp_le_u32_e32 vcc_lo, s34, v1
	s_or_b32 s5, vcc_lo, s5
	s_andn2_b32 exec_lo, exec_lo, s5
	s_cbranch_execz .LBB17_40
.LBB17_4:                               ; =>This Loop Header: Depth=1
                                        ;     Child Loop BB17_8 Depth 2
                                        ;       Child Loop BB17_12 Depth 3
                                        ;       Child Loop BB17_26 Depth 3
                                        ;       Child Loop BB17_36 Depth 3
	s_mov_b32 s41, exec_lo
	v_cmpx_gt_i32_e64 s33, v1
	s_cbranch_execz .LBB17_3
; %bb.5:                                ;   in Loop: Header=BB17_4 Depth=1
	v_ashrrev_i32_e32 v2, 31, v1
	v_lshlrev_b64 v[5:6], 2, v[1:2]
	v_add_co_u32 v7, vcc_lo, s24, v5
	v_add_co_ci_u32_e64 v8, null, s25, v6, vcc_lo
	v_add_co_u32 v9, vcc_lo, s26, v5
	v_add_co_ci_u32_e64 v10, null, s27, v6, vcc_lo
	global_load_dword v2, v[7:8], off
	global_load_dword v7, v[9:10], off
	s_waitcnt vmcnt(1)
	v_add_nc_u32_e32 v4, v0, v2
	s_waitcnt vmcnt(0)
	v_subrev_nc_u32_e32 v14, s35, v7
	v_cmp_lt_i32_e32 vcc_lo, v4, v14
	s_and_b32 exec_lo, exec_lo, vcc_lo
	s_cbranch_execz .LBB17_3
; %bb.6:                                ;   in Loop: Header=BB17_4 Depth=1
	v_add_co_u32 v7, vcc_lo, s16, v5
	v_add_co_ci_u32_e64 v8, null, s17, v6, vcc_lo
	v_add_co_u32 v5, vcc_lo, s18, v5
	v_add_co_ci_u32_e64 v6, null, s19, v6, vcc_lo
	global_load_dword v2, v[7:8], off
	s_mov_b32 s42, 0
	global_load_dword v5, v[5:6], off
	s_waitcnt vmcnt(1)
	v_subrev_nc_u32_e32 v6, s40, v2
	s_waitcnt vmcnt(0)
	v_sub_nc_u32_e32 v15, v5, v2
	v_ashrrev_i32_e32 v7, 31, v6
	v_cmp_lt_i32_e64 s0, 0, v15
	v_lshlrev_b64 v[8:9], 2, v[6:7]
	v_lshlrev_b64 v[10:11], 3, v[6:7]
	v_add_co_u32 v16, vcc_lo, s20, v8
	v_add_co_ci_u32_e64 v17, null, s21, v9, vcc_lo
	v_add_co_u32 v18, vcc_lo, s22, v10
	v_add_co_ci_u32_e64 v19, null, s23, v11, vcc_lo
	s_branch .LBB17_8
.LBB17_7:                               ;   in Loop: Header=BB17_8 Depth=2
	s_or_b32 exec_lo, exec_lo, s43
	v_add_nc_u32_e32 v4, 8, v4
	v_cmp_ge_i32_e32 vcc_lo, v4, v14
	s_or_b32 s42, vcc_lo, s42
	s_andn2_b32 exec_lo, exec_lo, s42
	s_cbranch_execz .LBB17_3
.LBB17_8:                               ;   Parent Loop BB17_4 Depth=1
                                        ; =>  This Loop Header: Depth=2
                                        ;       Child Loop BB17_12 Depth 3
                                        ;       Child Loop BB17_26 Depth 3
	;; [unrolled: 1-line block ×3, first 2 shown]
	v_ashrrev_i32_e32 v5, 31, v4
	v_lshlrev_b64 v[7:8], 2, v[4:5]
	v_add_co_u32 v7, vcc_lo, s28, v7
	v_add_co_ci_u32_e64 v8, null, s29, v8, vcc_lo
	global_load_dword v2, v[7:8], off
	s_waitcnt vmcnt(0)
	v_subrev_nc_u32_e32 v7, s35, v2
	v_ashrrev_i32_e32 v8, 31, v7
	v_lshlrev_b64 v[9:10], 2, v[7:8]
	v_add_co_u32 v11, vcc_lo, s8, v9
	v_add_co_ci_u32_e64 v12, null, s9, v10, vcc_lo
	v_add_co_u32 v9, vcc_lo, s10, v9
	v_add_co_ci_u32_e64 v10, null, s11, v10, vcc_lo
	global_load_dword v2, v[11:12], off
	global_load_dword v11, v[9:10], off
	v_mov_b32_e32 v10, 0
	v_mov_b32_e32 v12, 0
	;; [unrolled: 1-line block ×3, first 2 shown]
	s_waitcnt vmcnt(1)
	v_subrev_nc_u32_e32 v9, s4, v2
	s_waitcnt vmcnt(0)
	v_sub_nc_u32_e32 v20, v11, v2
	v_mov_b32_e32 v2, v10
	s_and_saveexec_b32 s43, s0
	s_cbranch_execz .LBB17_16
; %bb.9:                                ;   in Loop: Header=BB17_8 Depth=2
	v_ashrrev_i32_e32 v10, 31, v9
	v_mov_b32_e32 v12, 0
	v_mov_b32_e32 v13, 0
	;; [unrolled: 1-line block ×3, first 2 shown]
	s_mov_b32 s44, 0
	v_lshlrev_b64 v[21:22], 2, v[9:10]
	v_lshlrev_b64 v[10:11], 3, v[9:10]
                                        ; implicit-def: $sgpr45
	v_add_co_u32 v21, vcc_lo, s12, v21
	v_add_co_ci_u32_e64 v22, null, s13, v22, vcc_lo
	v_add_co_u32 v23, vcc_lo, s14, v10
	v_add_co_ci_u32_e64 v24, null, s15, v11, vcc_lo
	v_mov_b32_e32 v10, 0
	s_branch .LBB17_12
.LBB17_10:                              ;   in Loop: Header=BB17_12 Depth=3
	s_or_b32 exec_lo, exec_lo, s1
	v_cmp_le_i32_e32 vcc_lo, v25, v26
	v_cmp_ge_i32_e64 s1, v25, v26
	v_add_co_ci_u32_e64 v2, null, 0, v2, vcc_lo
	v_add_co_ci_u32_e64 v10, null, 0, v10, s1
	s_andn2_b32 s1, s45, exec_lo
	v_cmp_ge_i32_e32 vcc_lo, v2, v15
	s_and_b32 s45, vcc_lo, exec_lo
	s_or_b32 s45, s1, s45
.LBB17_11:                              ;   in Loop: Header=BB17_12 Depth=3
	s_or_b32 exec_lo, exec_lo, s46
	s_and_b32 s1, exec_lo, s45
	s_or_b32 s44, s1, s44
	s_andn2_b32 exec_lo, exec_lo, s44
	s_cbranch_execz .LBB17_15
.LBB17_12:                              ;   Parent Loop BB17_4 Depth=1
                                        ;     Parent Loop BB17_8 Depth=2
                                        ; =>    This Inner Loop Header: Depth=3
	s_or_b32 s45, s45, exec_lo
	s_mov_b32 s46, exec_lo
	v_cmpx_lt_i32_e64 v10, v20
	s_cbranch_execz .LBB17_11
; %bb.13:                               ;   in Loop: Header=BB17_12 Depth=3
	v_mov_b32_e32 v11, v3
	v_lshlrev_b64 v[25:26], 2, v[2:3]
	s_mov_b32 s1, exec_lo
	v_lshlrev_b64 v[27:28], 2, v[10:11]
	v_add_co_u32 v25, vcc_lo, v16, v25
	v_add_co_ci_u32_e64 v26, null, v17, v26, vcc_lo
	v_add_co_u32 v27, vcc_lo, v21, v27
	v_add_co_ci_u32_e64 v28, null, v22, v28, vcc_lo
	global_load_dword v25, v[25:26], off
	global_load_dword v26, v[27:28], off
	s_waitcnt vmcnt(1)
	v_subrev_nc_u32_e32 v25, s40, v25
	s_waitcnt vmcnt(0)
	v_subrev_nc_u32_e32 v26, s4, v26
	v_cmpx_eq_u32_e64 v25, v26
	s_cbranch_execz .LBB17_10
; %bb.14:                               ;   in Loop: Header=BB17_12 Depth=3
	v_lshlrev_b64 v[27:28], 3, v[2:3]
	v_lshlrev_b64 v[29:30], 3, v[10:11]
	v_add_co_u32 v27, vcc_lo, v18, v27
	v_add_co_ci_u32_e64 v28, null, v19, v28, vcc_lo
	v_add_co_u32 v29, vcc_lo, v23, v29
	v_add_co_ci_u32_e64 v30, null, v24, v30, vcc_lo
	global_load_dwordx2 v[27:28], v[27:28], off
	global_load_dwordx2 v[29:30], v[29:30], off
	s_waitcnt vmcnt(0)
	v_fma_f64 v[12:13], v[27:28], v[29:30], v[12:13]
	s_branch .LBB17_10
.LBB17_15:                              ;   in Loop: Header=BB17_8 Depth=2
	s_or_b32 exec_lo, exec_lo, s44
.LBB17_16:                              ;   in Loop: Header=BB17_8 Depth=2
	s_or_b32 exec_lo, exec_lo, s43
	v_lshlrev_b64 v[21:22], 3, v[4:5]
	v_cmp_le_i32_e64 s1, v1, v7
	s_mov_b32 s43, exec_lo
	v_add_co_u32 v21, vcc_lo, s30, v21
	v_add_co_ci_u32_e64 v22, null, s31, v22, vcc_lo
	global_load_dwordx2 v[21:22], v[21:22], off
	s_waitcnt vmcnt(0)
	v_add_f64 v[11:12], v[21:22], -v[12:13]
	v_cmpx_gt_i32_e64 v1, v7
	s_cbranch_execz .LBB17_18
; %bb.17:                               ;   in Loop: Header=BB17_8 Depth=2
	v_lshlrev_b64 v[21:22], 3, v[7:8]
	v_add_co_u32 v21, vcc_lo, s36, v21
	v_add_co_ci_u32_e64 v22, null, s37, v22, vcc_lo
	global_load_dwordx2 v[21:22], v[21:22], off
	s_waitcnt vmcnt(0)
	v_div_scale_f64 v[23:24], null, v[21:22], v[21:22], v[11:12]
	v_rcp_f64_e32 v[25:26], v[23:24]
	v_fma_f64 v[27:28], -v[23:24], v[25:26], 1.0
	v_fma_f64 v[25:26], v[25:26], v[27:28], v[25:26]
	v_fma_f64 v[27:28], -v[23:24], v[25:26], 1.0
	v_fma_f64 v[25:26], v[25:26], v[27:28], v[25:26]
	v_div_scale_f64 v[27:28], vcc_lo, v[11:12], v[21:22], v[11:12]
	v_mul_f64 v[29:30], v[27:28], v[25:26]
	v_fma_f64 v[23:24], -v[23:24], v[29:30], v[27:28]
	v_div_fmas_f64 v[23:24], v[23:24], v[25:26], v[29:30]
	v_div_fixup_f64 v[11:12], v[23:24], v[21:22], v[11:12]
.LBB17_18:                              ;   in Loop: Header=BB17_8 Depth=2
	s_or_b32 exec_lo, exec_lo, s43
	v_cmp_class_f64_e64 s44, v[11:12], 0x1f8
	s_and_saveexec_b32 s43, s44
	s_cbranch_execz .LBB17_7
; %bb.19:                               ;   in Loop: Header=BB17_8 Depth=2
	s_and_saveexec_b32 s44, s1
	s_xor_b32 s1, exec_lo, s44
	s_cbranch_execz .LBB17_32
; %bb.20:                               ;   in Loop: Header=BB17_8 Depth=2
	s_mov_b32 s44, exec_lo
	v_cmpx_ge_i32_e64 v1, v7
	s_xor_b32 s44, exec_lo, s44
	s_cbranch_execz .LBB17_22
; %bb.21:                               ;   in Loop: Header=BB17_8 Depth=2
	v_lshlrev_b64 v[7:8], 3, v[7:8]
                                        ; implicit-def: $vgpr10
                                        ; implicit-def: $vgpr20
                                        ; implicit-def: $vgpr9
	v_add_co_u32 v7, vcc_lo, s38, v7
	v_add_co_ci_u32_e64 v8, null, s39, v8, vcc_lo
	global_store_dwordx2 v[7:8], v[11:12], off
                                        ; implicit-def: $vgpr11_vgpr12
.LBB17_22:                              ;   in Loop: Header=BB17_8 Depth=2
	s_andn2_saveexec_b32 s44, s44
	s_cbranch_execz .LBB17_31
; %bb.23:                               ;   in Loop: Header=BB17_8 Depth=2
	s_mov_b32 s45, exec_lo
	v_cmpx_lt_i32_e64 v10, v20
	s_cbranch_execz .LBB17_30
; %bb.24:                               ;   in Loop: Header=BB17_8 Depth=2
	s_mov_b32 s46, 0
                                        ; implicit-def: $sgpr47
                                        ; implicit-def: $sgpr49
                                        ; implicit-def: $sgpr48
	s_inst_prefetch 0x1
	s_branch .LBB17_26
	.p2align	6
.LBB17_25:                              ;   in Loop: Header=BB17_26 Depth=3
	s_or_b32 exec_lo, exec_lo, s50
	s_and_b32 s50, exec_lo, s49
	s_or_b32 s46, s50, s46
	s_andn2_b32 s47, s47, exec_lo
	s_and_b32 s50, s48, exec_lo
	s_or_b32 s47, s47, s50
	s_andn2_b32 exec_lo, exec_lo, s46
	s_cbranch_execz .LBB17_28
.LBB17_26:                              ;   Parent Loop BB17_4 Depth=1
                                        ;     Parent Loop BB17_8 Depth=2
                                        ; =>    This Inner Loop Header: Depth=3
	v_add_nc_u32_e32 v7, v9, v10
	s_or_b32 s48, s48, exec_lo
	s_or_b32 s49, s49, exec_lo
	s_mov_b32 s50, exec_lo
	v_ashrrev_i32_e32 v8, 31, v7
	v_lshlrev_b64 v[21:22], 2, v[7:8]
	v_add_co_u32 v21, vcc_lo, s12, v21
	v_add_co_ci_u32_e64 v22, null, s13, v22, vcc_lo
	global_load_dword v2, v[21:22], off
	s_waitcnt vmcnt(0)
	v_subrev_nc_u32_e32 v2, s4, v2
	v_cmpx_ne_u32_e64 v2, v1
	s_cbranch_execz .LBB17_25
; %bb.27:                               ;   in Loop: Header=BB17_26 Depth=3
	v_add_nc_u32_e32 v10, 1, v10
	s_andn2_b32 s49, s49, exec_lo
	s_andn2_b32 s48, s48, exec_lo
	v_cmp_ge_i32_e32 vcc_lo, v10, v20
	s_and_b32 s51, vcc_lo, exec_lo
	s_or_b32 s49, s49, s51
	s_branch .LBB17_25
.LBB17_28:                              ;   in Loop: Header=BB17_8 Depth=2
	s_inst_prefetch 0x2
	s_or_b32 exec_lo, exec_lo, s46
	s_and_saveexec_b32 s46, s47
	s_xor_b32 s46, exec_lo, s46
	s_cbranch_execz .LBB17_30
; %bb.29:                               ;   in Loop: Header=BB17_8 Depth=2
	v_lshlrev_b64 v[7:8], 3, v[7:8]
	v_add_co_u32 v7, vcc_lo, s6, v7
	v_add_co_ci_u32_e64 v8, null, s7, v8, vcc_lo
	global_store_dwordx2 v[7:8], v[11:12], off
.LBB17_30:                              ;   in Loop: Header=BB17_8 Depth=2
	s_or_b32 exec_lo, exec_lo, s45
.LBB17_31:                              ;   in Loop: Header=BB17_8 Depth=2
	s_or_b32 exec_lo, exec_lo, s44
                                        ; implicit-def: $vgpr11_vgpr12
                                        ; implicit-def: $vgpr7_vgpr8
.LBB17_32:                              ;   in Loop: Header=BB17_8 Depth=2
	s_andn2_saveexec_b32 s1, s1
	s_cbranch_execz .LBB17_7
; %bb.33:                               ;   in Loop: Header=BB17_8 Depth=2
	v_cmp_lt_i32_e32 vcc_lo, v2, v15
	s_and_b32 exec_lo, exec_lo, vcc_lo
	s_cbranch_execz .LBB17_7
; %bb.34:                               ;   in Loop: Header=BB17_8 Depth=2
	s_mov_b32 s1, 0
                                        ; implicit-def: $sgpr44
                                        ; implicit-def: $sgpr46
                                        ; implicit-def: $sgpr45
	s_inst_prefetch 0x1
	s_branch .LBB17_36
	.p2align	6
.LBB17_35:                              ;   in Loop: Header=BB17_36 Depth=3
	s_or_b32 exec_lo, exec_lo, s47
	s_and_b32 s47, exec_lo, s46
	s_or_b32 s1, s47, s1
	s_andn2_b32 s44, s44, exec_lo
	s_and_b32 s47, s45, exec_lo
	s_or_b32 s44, s44, s47
	s_andn2_b32 exec_lo, exec_lo, s1
	s_cbranch_execz .LBB17_38
.LBB17_36:                              ;   Parent Loop BB17_4 Depth=1
                                        ;     Parent Loop BB17_8 Depth=2
                                        ; =>    This Inner Loop Header: Depth=3
	v_add_nc_u32_e32 v8, v6, v2
	s_or_b32 s45, s45, exec_lo
	s_or_b32 s46, s46, exec_lo
	s_mov_b32 s47, exec_lo
	v_ashrrev_i32_e32 v9, 31, v8
	v_lshlrev_b64 v[20:21], 2, v[8:9]
	v_add_co_u32 v20, vcc_lo, s20, v20
	v_add_co_ci_u32_e64 v21, null, s21, v21, vcc_lo
	global_load_dword v5, v[20:21], off
	s_waitcnt vmcnt(0)
	v_subrev_nc_u32_e32 v5, s40, v5
	v_cmpx_ne_u32_e64 v5, v7
	s_cbranch_execz .LBB17_35
; %bb.37:                               ;   in Loop: Header=BB17_36 Depth=3
	v_add_nc_u32_e32 v2, 1, v2
	s_andn2_b32 s46, s46, exec_lo
	s_andn2_b32 s45, s45, exec_lo
	v_cmp_ge_i32_e32 vcc_lo, v2, v15
	s_and_b32 s48, vcc_lo, exec_lo
	s_or_b32 s46, s46, s48
	s_branch .LBB17_35
.LBB17_38:                              ;   in Loop: Header=BB17_8 Depth=2
	s_inst_prefetch 0x2
	s_or_b32 exec_lo, exec_lo, s1
	s_and_saveexec_b32 s1, s44
	s_xor_b32 s1, exec_lo, s1
	s_cbranch_execz .LBB17_7
; %bb.39:                               ;   in Loop: Header=BB17_8 Depth=2
	v_lshlrev_b64 v[7:8], 3, v[8:9]
	v_add_co_u32 v7, vcc_lo, s2, v7
	v_add_co_ci_u32_e64 v8, null, s3, v8, vcc_lo
	global_store_dwordx2 v[7:8], v[11:12], off
	s_branch .LBB17_7
.LBB17_40:
	s_endpgm
	.section	.rodata,"a",@progbits
	.p2align	6, 0x0
	.amdhsa_kernel _ZN9rocsparseL17kernel_correctionILi1024ELi8EdiiEEvT3_T2_PKS2_S4_PKS1_PKT1_21rocsparse_index_base_S4_S4_S6_S9_PS7_SA_S4_S4_S6_S9_SB_SA_S9_SB_
		.amdhsa_group_segment_fixed_size 0
		.amdhsa_private_segment_fixed_size 0
		.amdhsa_kernarg_size 160
		.amdhsa_user_sgpr_count 6
		.amdhsa_user_sgpr_private_segment_buffer 1
		.amdhsa_user_sgpr_dispatch_ptr 0
		.amdhsa_user_sgpr_queue_ptr 0
		.amdhsa_user_sgpr_kernarg_segment_ptr 1
		.amdhsa_user_sgpr_dispatch_id 0
		.amdhsa_user_sgpr_flat_scratch_init 0
		.amdhsa_user_sgpr_private_segment_size 0
		.amdhsa_wavefront_size32 1
		.amdhsa_uses_dynamic_stack 0
		.amdhsa_system_sgpr_private_segment_wavefront_offset 0
		.amdhsa_system_sgpr_workgroup_id_x 1
		.amdhsa_system_sgpr_workgroup_id_y 0
		.amdhsa_system_sgpr_workgroup_id_z 0
		.amdhsa_system_sgpr_workgroup_info 0
		.amdhsa_system_vgpr_workitem_id 0
		.amdhsa_next_free_vgpr 31
		.amdhsa_next_free_sgpr 52
		.amdhsa_reserve_vcc 1
		.amdhsa_reserve_flat_scratch 0
		.amdhsa_float_round_mode_32 0
		.amdhsa_float_round_mode_16_64 0
		.amdhsa_float_denorm_mode_32 3
		.amdhsa_float_denorm_mode_16_64 3
		.amdhsa_dx10_clamp 1
		.amdhsa_ieee_mode 1
		.amdhsa_fp16_overflow 0
		.amdhsa_workgroup_processor_mode 1
		.amdhsa_memory_ordered 1
		.amdhsa_forward_progress 1
		.amdhsa_shared_vgpr_count 0
		.amdhsa_exception_fp_ieee_invalid_op 0
		.amdhsa_exception_fp_denorm_src 0
		.amdhsa_exception_fp_ieee_div_zero 0
		.amdhsa_exception_fp_ieee_overflow 0
		.amdhsa_exception_fp_ieee_underflow 0
		.amdhsa_exception_fp_ieee_inexact 0
		.amdhsa_exception_int_div_zero 0
	.end_amdhsa_kernel
	.section	.text._ZN9rocsparseL17kernel_correctionILi1024ELi8EdiiEEvT3_T2_PKS2_S4_PKS1_PKT1_21rocsparse_index_base_S4_S4_S6_S9_PS7_SA_S4_S4_S6_S9_SB_SA_S9_SB_,"axG",@progbits,_ZN9rocsparseL17kernel_correctionILi1024ELi8EdiiEEvT3_T2_PKS2_S4_PKS1_PKT1_21rocsparse_index_base_S4_S4_S6_S9_PS7_SA_S4_S4_S6_S9_SB_SA_S9_SB_,comdat
.Lfunc_end17:
	.size	_ZN9rocsparseL17kernel_correctionILi1024ELi8EdiiEEvT3_T2_PKS2_S4_PKS1_PKT1_21rocsparse_index_base_S4_S4_S6_S9_PS7_SA_S4_S4_S6_S9_SB_SA_S9_SB_, .Lfunc_end17-_ZN9rocsparseL17kernel_correctionILi1024ELi8EdiiEEvT3_T2_PKS2_S4_PKS1_PKT1_21rocsparse_index_base_S4_S4_S6_S9_PS7_SA_S4_S4_S6_S9_SB_SA_S9_SB_
                                        ; -- End function
	.set _ZN9rocsparseL17kernel_correctionILi1024ELi8EdiiEEvT3_T2_PKS2_S4_PKS1_PKT1_21rocsparse_index_base_S4_S4_S6_S9_PS7_SA_S4_S4_S6_S9_SB_SA_S9_SB_.num_vgpr, 31
	.set _ZN9rocsparseL17kernel_correctionILi1024ELi8EdiiEEvT3_T2_PKS2_S4_PKS1_PKT1_21rocsparse_index_base_S4_S4_S6_S9_PS7_SA_S4_S4_S6_S9_SB_SA_S9_SB_.num_agpr, 0
	.set _ZN9rocsparseL17kernel_correctionILi1024ELi8EdiiEEvT3_T2_PKS2_S4_PKS1_PKT1_21rocsparse_index_base_S4_S4_S6_S9_PS7_SA_S4_S4_S6_S9_SB_SA_S9_SB_.numbered_sgpr, 52
	.set _ZN9rocsparseL17kernel_correctionILi1024ELi8EdiiEEvT3_T2_PKS2_S4_PKS1_PKT1_21rocsparse_index_base_S4_S4_S6_S9_PS7_SA_S4_S4_S6_S9_SB_SA_S9_SB_.num_named_barrier, 0
	.set _ZN9rocsparseL17kernel_correctionILi1024ELi8EdiiEEvT3_T2_PKS2_S4_PKS1_PKT1_21rocsparse_index_base_S4_S4_S6_S9_PS7_SA_S4_S4_S6_S9_SB_SA_S9_SB_.private_seg_size, 0
	.set _ZN9rocsparseL17kernel_correctionILi1024ELi8EdiiEEvT3_T2_PKS2_S4_PKS1_PKT1_21rocsparse_index_base_S4_S4_S6_S9_PS7_SA_S4_S4_S6_S9_SB_SA_S9_SB_.uses_vcc, 1
	.set _ZN9rocsparseL17kernel_correctionILi1024ELi8EdiiEEvT3_T2_PKS2_S4_PKS1_PKT1_21rocsparse_index_base_S4_S4_S6_S9_PS7_SA_S4_S4_S6_S9_SB_SA_S9_SB_.uses_flat_scratch, 0
	.set _ZN9rocsparseL17kernel_correctionILi1024ELi8EdiiEEvT3_T2_PKS2_S4_PKS1_PKT1_21rocsparse_index_base_S4_S4_S6_S9_PS7_SA_S4_S4_S6_S9_SB_SA_S9_SB_.has_dyn_sized_stack, 0
	.set _ZN9rocsparseL17kernel_correctionILi1024ELi8EdiiEEvT3_T2_PKS2_S4_PKS1_PKT1_21rocsparse_index_base_S4_S4_S6_S9_PS7_SA_S4_S4_S6_S9_SB_SA_S9_SB_.has_recursion, 0
	.set _ZN9rocsparseL17kernel_correctionILi1024ELi8EdiiEEvT3_T2_PKS2_S4_PKS1_PKT1_21rocsparse_index_base_S4_S4_S6_S9_PS7_SA_S4_S4_S6_S9_SB_SA_S9_SB_.has_indirect_call, 0
	.section	.AMDGPU.csdata,"",@progbits
; Kernel info:
; codeLenInByte = 1728
; TotalNumSgprs: 54
; NumVgprs: 31
; ScratchSize: 0
; MemoryBound: 1
; FloatMode: 240
; IeeeMode: 1
; LDSByteSize: 0 bytes/workgroup (compile time only)
; SGPRBlocks: 0
; VGPRBlocks: 3
; NumSGPRsForWavesPerEU: 54
; NumVGPRsForWavesPerEU: 31
; Occupancy: 16
; WaveLimiterHint : 1
; COMPUTE_PGM_RSRC2:SCRATCH_EN: 0
; COMPUTE_PGM_RSRC2:USER_SGPR: 6
; COMPUTE_PGM_RSRC2:TRAP_HANDLER: 0
; COMPUTE_PGM_RSRC2:TGID_X_EN: 1
; COMPUTE_PGM_RSRC2:TGID_Y_EN: 0
; COMPUTE_PGM_RSRC2:TGID_Z_EN: 0
; COMPUTE_PGM_RSRC2:TIDIG_COMP_CNT: 0
	.section	.text._ZN9rocsparseL17kernel_correctionILi1024ELi16EdiiEEvT3_T2_PKS2_S4_PKS1_PKT1_21rocsparse_index_base_S4_S4_S6_S9_PS7_SA_S4_S4_S6_S9_SB_SA_S9_SB_,"axG",@progbits,_ZN9rocsparseL17kernel_correctionILi1024ELi16EdiiEEvT3_T2_PKS2_S4_PKS1_PKT1_21rocsparse_index_base_S4_S4_S6_S9_PS7_SA_S4_S4_S6_S9_SB_SA_S9_SB_,comdat
	.globl	_ZN9rocsparseL17kernel_correctionILi1024ELi16EdiiEEvT3_T2_PKS2_S4_PKS1_PKT1_21rocsparse_index_base_S4_S4_S6_S9_PS7_SA_S4_S4_S6_S9_SB_SA_S9_SB_ ; -- Begin function _ZN9rocsparseL17kernel_correctionILi1024ELi16EdiiEEvT3_T2_PKS2_S4_PKS1_PKT1_21rocsparse_index_base_S4_S4_S6_S9_PS7_SA_S4_S4_S6_S9_SB_SA_S9_SB_
	.p2align	8
	.type	_ZN9rocsparseL17kernel_correctionILi1024ELi16EdiiEEvT3_T2_PKS2_S4_PKS1_PKT1_21rocsparse_index_base_S4_S4_S6_S9_PS7_SA_S4_S4_S6_S9_SB_SA_S9_SB_,@function
_ZN9rocsparseL17kernel_correctionILi1024ELi16EdiiEEvT3_T2_PKS2_S4_PKS1_PKT1_21rocsparse_index_base_S4_S4_S6_S9_PS7_SA_S4_S4_S6_S9_SB_SA_S9_SB_: ; @_ZN9rocsparseL17kernel_correctionILi1024ELi16EdiiEEvT3_T2_PKS2_S4_PKS1_PKT1_21rocsparse_index_base_S4_S4_S6_S9_PS7_SA_S4_S4_S6_S9_SB_SA_S9_SB_
; %bb.0:
	s_load_dword s33, s[4:5], 0x0
	v_lshrrev_b32_e32 v1, 4, v0
	s_lshl_b32 s34, s6, 10
	s_mov_b32 s0, exec_lo
	v_or_b32_e32 v1, s34, v1
	s_waitcnt lgkmcnt(0)
	v_cmpx_gt_i32_e64 s33, v1
	s_cbranch_execz .LBB18_40
; %bb.1:
	s_addk_i32 s34, 0x400
	v_cmp_gt_u32_e32 vcc_lo, s34, v1
	s_and_b32 exec_lo, exec_lo, vcc_lo
	s_cbranch_execz .LBB18_40
; %bb.2:
	s_clause 0x8
	s_load_dwordx4 s[36:39], s[4:5], 0x90
	s_load_dwordx8 s[8:15], s[4:5], 0x60
	s_load_dword s35, s[4:5], 0x28
	s_load_dwordx8 s[16:23], s[4:5], 0x30
	s_load_dwordx8 s[24:31], s[4:5], 0x8
	s_load_dwordx2 s[2:3], s[4:5], 0x50
	s_load_dword s40, s[4:5], 0x58
	s_load_dwordx2 s[6:7], s[4:5], 0x80
	s_load_dword s4, s[4:5], 0x88
	v_and_b32_e32 v0, 15, v0
	v_mov_b32_e32 v3, 0
	s_mov_b32 s5, 0
	s_waitcnt lgkmcnt(0)
	v_subrev_nc_u32_e32 v0, s35, v0
	s_branch .LBB18_4
.LBB18_3:                               ;   in Loop: Header=BB18_4 Depth=1
	s_or_b32 exec_lo, exec_lo, s41
	v_add_nc_u32_e32 v1, 64, v1
	v_cmp_le_u32_e32 vcc_lo, s34, v1
	s_or_b32 s5, vcc_lo, s5
	s_andn2_b32 exec_lo, exec_lo, s5
	s_cbranch_execz .LBB18_40
.LBB18_4:                               ; =>This Loop Header: Depth=1
                                        ;     Child Loop BB18_8 Depth 2
                                        ;       Child Loop BB18_12 Depth 3
                                        ;       Child Loop BB18_26 Depth 3
                                        ;       Child Loop BB18_36 Depth 3
	s_mov_b32 s41, exec_lo
	v_cmpx_gt_i32_e64 s33, v1
	s_cbranch_execz .LBB18_3
; %bb.5:                                ;   in Loop: Header=BB18_4 Depth=1
	v_ashrrev_i32_e32 v2, 31, v1
	v_lshlrev_b64 v[5:6], 2, v[1:2]
	v_add_co_u32 v7, vcc_lo, s24, v5
	v_add_co_ci_u32_e64 v8, null, s25, v6, vcc_lo
	v_add_co_u32 v9, vcc_lo, s26, v5
	v_add_co_ci_u32_e64 v10, null, s27, v6, vcc_lo
	global_load_dword v2, v[7:8], off
	global_load_dword v7, v[9:10], off
	s_waitcnt vmcnt(1)
	v_add_nc_u32_e32 v4, v0, v2
	s_waitcnt vmcnt(0)
	v_subrev_nc_u32_e32 v14, s35, v7
	v_cmp_lt_i32_e32 vcc_lo, v4, v14
	s_and_b32 exec_lo, exec_lo, vcc_lo
	s_cbranch_execz .LBB18_3
; %bb.6:                                ;   in Loop: Header=BB18_4 Depth=1
	v_add_co_u32 v7, vcc_lo, s16, v5
	v_add_co_ci_u32_e64 v8, null, s17, v6, vcc_lo
	v_add_co_u32 v5, vcc_lo, s18, v5
	v_add_co_ci_u32_e64 v6, null, s19, v6, vcc_lo
	global_load_dword v2, v[7:8], off
	s_mov_b32 s42, 0
	global_load_dword v5, v[5:6], off
	s_waitcnt vmcnt(1)
	v_subrev_nc_u32_e32 v6, s40, v2
	s_waitcnt vmcnt(0)
	v_sub_nc_u32_e32 v15, v5, v2
	v_ashrrev_i32_e32 v7, 31, v6
	v_cmp_lt_i32_e64 s0, 0, v15
	v_lshlrev_b64 v[8:9], 2, v[6:7]
	v_lshlrev_b64 v[10:11], 3, v[6:7]
	v_add_co_u32 v16, vcc_lo, s20, v8
	v_add_co_ci_u32_e64 v17, null, s21, v9, vcc_lo
	v_add_co_u32 v18, vcc_lo, s22, v10
	v_add_co_ci_u32_e64 v19, null, s23, v11, vcc_lo
	s_branch .LBB18_8
.LBB18_7:                               ;   in Loop: Header=BB18_8 Depth=2
	s_or_b32 exec_lo, exec_lo, s43
	v_add_nc_u32_e32 v4, 16, v4
	v_cmp_ge_i32_e32 vcc_lo, v4, v14
	s_or_b32 s42, vcc_lo, s42
	s_andn2_b32 exec_lo, exec_lo, s42
	s_cbranch_execz .LBB18_3
.LBB18_8:                               ;   Parent Loop BB18_4 Depth=1
                                        ; =>  This Loop Header: Depth=2
                                        ;       Child Loop BB18_12 Depth 3
                                        ;       Child Loop BB18_26 Depth 3
	;; [unrolled: 1-line block ×3, first 2 shown]
	v_ashrrev_i32_e32 v5, 31, v4
	v_lshlrev_b64 v[7:8], 2, v[4:5]
	v_add_co_u32 v7, vcc_lo, s28, v7
	v_add_co_ci_u32_e64 v8, null, s29, v8, vcc_lo
	global_load_dword v2, v[7:8], off
	s_waitcnt vmcnt(0)
	v_subrev_nc_u32_e32 v7, s35, v2
	v_ashrrev_i32_e32 v8, 31, v7
	v_lshlrev_b64 v[9:10], 2, v[7:8]
	v_add_co_u32 v11, vcc_lo, s8, v9
	v_add_co_ci_u32_e64 v12, null, s9, v10, vcc_lo
	v_add_co_u32 v9, vcc_lo, s10, v9
	v_add_co_ci_u32_e64 v10, null, s11, v10, vcc_lo
	global_load_dword v2, v[11:12], off
	global_load_dword v11, v[9:10], off
	v_mov_b32_e32 v10, 0
	v_mov_b32_e32 v12, 0
	;; [unrolled: 1-line block ×3, first 2 shown]
	s_waitcnt vmcnt(1)
	v_subrev_nc_u32_e32 v9, s4, v2
	s_waitcnt vmcnt(0)
	v_sub_nc_u32_e32 v20, v11, v2
	v_mov_b32_e32 v2, v10
	s_and_saveexec_b32 s43, s0
	s_cbranch_execz .LBB18_16
; %bb.9:                                ;   in Loop: Header=BB18_8 Depth=2
	v_ashrrev_i32_e32 v10, 31, v9
	v_mov_b32_e32 v12, 0
	v_mov_b32_e32 v13, 0
	;; [unrolled: 1-line block ×3, first 2 shown]
	s_mov_b32 s44, 0
	v_lshlrev_b64 v[21:22], 2, v[9:10]
	v_lshlrev_b64 v[10:11], 3, v[9:10]
                                        ; implicit-def: $sgpr45
	v_add_co_u32 v21, vcc_lo, s12, v21
	v_add_co_ci_u32_e64 v22, null, s13, v22, vcc_lo
	v_add_co_u32 v23, vcc_lo, s14, v10
	v_add_co_ci_u32_e64 v24, null, s15, v11, vcc_lo
	v_mov_b32_e32 v10, 0
	s_branch .LBB18_12
.LBB18_10:                              ;   in Loop: Header=BB18_12 Depth=3
	s_or_b32 exec_lo, exec_lo, s1
	v_cmp_le_i32_e32 vcc_lo, v25, v26
	v_cmp_ge_i32_e64 s1, v25, v26
	v_add_co_ci_u32_e64 v2, null, 0, v2, vcc_lo
	v_add_co_ci_u32_e64 v10, null, 0, v10, s1
	s_andn2_b32 s1, s45, exec_lo
	v_cmp_ge_i32_e32 vcc_lo, v2, v15
	s_and_b32 s45, vcc_lo, exec_lo
	s_or_b32 s45, s1, s45
.LBB18_11:                              ;   in Loop: Header=BB18_12 Depth=3
	s_or_b32 exec_lo, exec_lo, s46
	s_and_b32 s1, exec_lo, s45
	s_or_b32 s44, s1, s44
	s_andn2_b32 exec_lo, exec_lo, s44
	s_cbranch_execz .LBB18_15
.LBB18_12:                              ;   Parent Loop BB18_4 Depth=1
                                        ;     Parent Loop BB18_8 Depth=2
                                        ; =>    This Inner Loop Header: Depth=3
	s_or_b32 s45, s45, exec_lo
	s_mov_b32 s46, exec_lo
	v_cmpx_lt_i32_e64 v10, v20
	s_cbranch_execz .LBB18_11
; %bb.13:                               ;   in Loop: Header=BB18_12 Depth=3
	v_mov_b32_e32 v11, v3
	v_lshlrev_b64 v[25:26], 2, v[2:3]
	s_mov_b32 s1, exec_lo
	v_lshlrev_b64 v[27:28], 2, v[10:11]
	v_add_co_u32 v25, vcc_lo, v16, v25
	v_add_co_ci_u32_e64 v26, null, v17, v26, vcc_lo
	v_add_co_u32 v27, vcc_lo, v21, v27
	v_add_co_ci_u32_e64 v28, null, v22, v28, vcc_lo
	global_load_dword v25, v[25:26], off
	global_load_dword v26, v[27:28], off
	s_waitcnt vmcnt(1)
	v_subrev_nc_u32_e32 v25, s40, v25
	s_waitcnt vmcnt(0)
	v_subrev_nc_u32_e32 v26, s4, v26
	v_cmpx_eq_u32_e64 v25, v26
	s_cbranch_execz .LBB18_10
; %bb.14:                               ;   in Loop: Header=BB18_12 Depth=3
	v_lshlrev_b64 v[27:28], 3, v[2:3]
	v_lshlrev_b64 v[29:30], 3, v[10:11]
	v_add_co_u32 v27, vcc_lo, v18, v27
	v_add_co_ci_u32_e64 v28, null, v19, v28, vcc_lo
	v_add_co_u32 v29, vcc_lo, v23, v29
	v_add_co_ci_u32_e64 v30, null, v24, v30, vcc_lo
	global_load_dwordx2 v[27:28], v[27:28], off
	global_load_dwordx2 v[29:30], v[29:30], off
	s_waitcnt vmcnt(0)
	v_fma_f64 v[12:13], v[27:28], v[29:30], v[12:13]
	s_branch .LBB18_10
.LBB18_15:                              ;   in Loop: Header=BB18_8 Depth=2
	s_or_b32 exec_lo, exec_lo, s44
.LBB18_16:                              ;   in Loop: Header=BB18_8 Depth=2
	s_or_b32 exec_lo, exec_lo, s43
	v_lshlrev_b64 v[21:22], 3, v[4:5]
	v_cmp_le_i32_e64 s1, v1, v7
	s_mov_b32 s43, exec_lo
	v_add_co_u32 v21, vcc_lo, s30, v21
	v_add_co_ci_u32_e64 v22, null, s31, v22, vcc_lo
	global_load_dwordx2 v[21:22], v[21:22], off
	s_waitcnt vmcnt(0)
	v_add_f64 v[11:12], v[21:22], -v[12:13]
	v_cmpx_gt_i32_e64 v1, v7
	s_cbranch_execz .LBB18_18
; %bb.17:                               ;   in Loop: Header=BB18_8 Depth=2
	v_lshlrev_b64 v[21:22], 3, v[7:8]
	v_add_co_u32 v21, vcc_lo, s36, v21
	v_add_co_ci_u32_e64 v22, null, s37, v22, vcc_lo
	global_load_dwordx2 v[21:22], v[21:22], off
	s_waitcnt vmcnt(0)
	v_div_scale_f64 v[23:24], null, v[21:22], v[21:22], v[11:12]
	v_rcp_f64_e32 v[25:26], v[23:24]
	v_fma_f64 v[27:28], -v[23:24], v[25:26], 1.0
	v_fma_f64 v[25:26], v[25:26], v[27:28], v[25:26]
	v_fma_f64 v[27:28], -v[23:24], v[25:26], 1.0
	v_fma_f64 v[25:26], v[25:26], v[27:28], v[25:26]
	v_div_scale_f64 v[27:28], vcc_lo, v[11:12], v[21:22], v[11:12]
	v_mul_f64 v[29:30], v[27:28], v[25:26]
	v_fma_f64 v[23:24], -v[23:24], v[29:30], v[27:28]
	v_div_fmas_f64 v[23:24], v[23:24], v[25:26], v[29:30]
	v_div_fixup_f64 v[11:12], v[23:24], v[21:22], v[11:12]
.LBB18_18:                              ;   in Loop: Header=BB18_8 Depth=2
	s_or_b32 exec_lo, exec_lo, s43
	v_cmp_class_f64_e64 s44, v[11:12], 0x1f8
	s_and_saveexec_b32 s43, s44
	s_cbranch_execz .LBB18_7
; %bb.19:                               ;   in Loop: Header=BB18_8 Depth=2
	s_and_saveexec_b32 s44, s1
	s_xor_b32 s1, exec_lo, s44
	s_cbranch_execz .LBB18_32
; %bb.20:                               ;   in Loop: Header=BB18_8 Depth=2
	s_mov_b32 s44, exec_lo
	v_cmpx_ge_i32_e64 v1, v7
	s_xor_b32 s44, exec_lo, s44
	s_cbranch_execz .LBB18_22
; %bb.21:                               ;   in Loop: Header=BB18_8 Depth=2
	v_lshlrev_b64 v[7:8], 3, v[7:8]
                                        ; implicit-def: $vgpr10
                                        ; implicit-def: $vgpr20
                                        ; implicit-def: $vgpr9
	v_add_co_u32 v7, vcc_lo, s38, v7
	v_add_co_ci_u32_e64 v8, null, s39, v8, vcc_lo
	global_store_dwordx2 v[7:8], v[11:12], off
                                        ; implicit-def: $vgpr11_vgpr12
.LBB18_22:                              ;   in Loop: Header=BB18_8 Depth=2
	s_andn2_saveexec_b32 s44, s44
	s_cbranch_execz .LBB18_31
; %bb.23:                               ;   in Loop: Header=BB18_8 Depth=2
	s_mov_b32 s45, exec_lo
	v_cmpx_lt_i32_e64 v10, v20
	s_cbranch_execz .LBB18_30
; %bb.24:                               ;   in Loop: Header=BB18_8 Depth=2
	s_mov_b32 s46, 0
                                        ; implicit-def: $sgpr47
                                        ; implicit-def: $sgpr49
                                        ; implicit-def: $sgpr48
	s_inst_prefetch 0x1
	s_branch .LBB18_26
	.p2align	6
.LBB18_25:                              ;   in Loop: Header=BB18_26 Depth=3
	s_or_b32 exec_lo, exec_lo, s50
	s_and_b32 s50, exec_lo, s49
	s_or_b32 s46, s50, s46
	s_andn2_b32 s47, s47, exec_lo
	s_and_b32 s50, s48, exec_lo
	s_or_b32 s47, s47, s50
	s_andn2_b32 exec_lo, exec_lo, s46
	s_cbranch_execz .LBB18_28
.LBB18_26:                              ;   Parent Loop BB18_4 Depth=1
                                        ;     Parent Loop BB18_8 Depth=2
                                        ; =>    This Inner Loop Header: Depth=3
	v_add_nc_u32_e32 v7, v9, v10
	s_or_b32 s48, s48, exec_lo
	s_or_b32 s49, s49, exec_lo
	s_mov_b32 s50, exec_lo
	v_ashrrev_i32_e32 v8, 31, v7
	v_lshlrev_b64 v[21:22], 2, v[7:8]
	v_add_co_u32 v21, vcc_lo, s12, v21
	v_add_co_ci_u32_e64 v22, null, s13, v22, vcc_lo
	global_load_dword v2, v[21:22], off
	s_waitcnt vmcnt(0)
	v_subrev_nc_u32_e32 v2, s4, v2
	v_cmpx_ne_u32_e64 v2, v1
	s_cbranch_execz .LBB18_25
; %bb.27:                               ;   in Loop: Header=BB18_26 Depth=3
	v_add_nc_u32_e32 v10, 1, v10
	s_andn2_b32 s49, s49, exec_lo
	s_andn2_b32 s48, s48, exec_lo
	v_cmp_ge_i32_e32 vcc_lo, v10, v20
	s_and_b32 s51, vcc_lo, exec_lo
	s_or_b32 s49, s49, s51
	s_branch .LBB18_25
.LBB18_28:                              ;   in Loop: Header=BB18_8 Depth=2
	s_inst_prefetch 0x2
	s_or_b32 exec_lo, exec_lo, s46
	s_and_saveexec_b32 s46, s47
	s_xor_b32 s46, exec_lo, s46
	s_cbranch_execz .LBB18_30
; %bb.29:                               ;   in Loop: Header=BB18_8 Depth=2
	v_lshlrev_b64 v[7:8], 3, v[7:8]
	v_add_co_u32 v7, vcc_lo, s6, v7
	v_add_co_ci_u32_e64 v8, null, s7, v8, vcc_lo
	global_store_dwordx2 v[7:8], v[11:12], off
.LBB18_30:                              ;   in Loop: Header=BB18_8 Depth=2
	s_or_b32 exec_lo, exec_lo, s45
.LBB18_31:                              ;   in Loop: Header=BB18_8 Depth=2
	s_or_b32 exec_lo, exec_lo, s44
                                        ; implicit-def: $vgpr11_vgpr12
                                        ; implicit-def: $vgpr7_vgpr8
.LBB18_32:                              ;   in Loop: Header=BB18_8 Depth=2
	s_andn2_saveexec_b32 s1, s1
	s_cbranch_execz .LBB18_7
; %bb.33:                               ;   in Loop: Header=BB18_8 Depth=2
	v_cmp_lt_i32_e32 vcc_lo, v2, v15
	s_and_b32 exec_lo, exec_lo, vcc_lo
	s_cbranch_execz .LBB18_7
; %bb.34:                               ;   in Loop: Header=BB18_8 Depth=2
	s_mov_b32 s1, 0
                                        ; implicit-def: $sgpr44
                                        ; implicit-def: $sgpr46
                                        ; implicit-def: $sgpr45
	s_inst_prefetch 0x1
	s_branch .LBB18_36
	.p2align	6
.LBB18_35:                              ;   in Loop: Header=BB18_36 Depth=3
	s_or_b32 exec_lo, exec_lo, s47
	s_and_b32 s47, exec_lo, s46
	s_or_b32 s1, s47, s1
	s_andn2_b32 s44, s44, exec_lo
	s_and_b32 s47, s45, exec_lo
	s_or_b32 s44, s44, s47
	s_andn2_b32 exec_lo, exec_lo, s1
	s_cbranch_execz .LBB18_38
.LBB18_36:                              ;   Parent Loop BB18_4 Depth=1
                                        ;     Parent Loop BB18_8 Depth=2
                                        ; =>    This Inner Loop Header: Depth=3
	v_add_nc_u32_e32 v8, v6, v2
	s_or_b32 s45, s45, exec_lo
	s_or_b32 s46, s46, exec_lo
	s_mov_b32 s47, exec_lo
	v_ashrrev_i32_e32 v9, 31, v8
	v_lshlrev_b64 v[20:21], 2, v[8:9]
	v_add_co_u32 v20, vcc_lo, s20, v20
	v_add_co_ci_u32_e64 v21, null, s21, v21, vcc_lo
	global_load_dword v5, v[20:21], off
	s_waitcnt vmcnt(0)
	v_subrev_nc_u32_e32 v5, s40, v5
	v_cmpx_ne_u32_e64 v5, v7
	s_cbranch_execz .LBB18_35
; %bb.37:                               ;   in Loop: Header=BB18_36 Depth=3
	v_add_nc_u32_e32 v2, 1, v2
	s_andn2_b32 s46, s46, exec_lo
	s_andn2_b32 s45, s45, exec_lo
	v_cmp_ge_i32_e32 vcc_lo, v2, v15
	s_and_b32 s48, vcc_lo, exec_lo
	s_or_b32 s46, s46, s48
	s_branch .LBB18_35
.LBB18_38:                              ;   in Loop: Header=BB18_8 Depth=2
	s_inst_prefetch 0x2
	s_or_b32 exec_lo, exec_lo, s1
	s_and_saveexec_b32 s1, s44
	s_xor_b32 s1, exec_lo, s1
	s_cbranch_execz .LBB18_7
; %bb.39:                               ;   in Loop: Header=BB18_8 Depth=2
	v_lshlrev_b64 v[7:8], 3, v[8:9]
	v_add_co_u32 v7, vcc_lo, s2, v7
	v_add_co_ci_u32_e64 v8, null, s3, v8, vcc_lo
	global_store_dwordx2 v[7:8], v[11:12], off
	s_branch .LBB18_7
.LBB18_40:
	s_endpgm
	.section	.rodata,"a",@progbits
	.p2align	6, 0x0
	.amdhsa_kernel _ZN9rocsparseL17kernel_correctionILi1024ELi16EdiiEEvT3_T2_PKS2_S4_PKS1_PKT1_21rocsparse_index_base_S4_S4_S6_S9_PS7_SA_S4_S4_S6_S9_SB_SA_S9_SB_
		.amdhsa_group_segment_fixed_size 0
		.amdhsa_private_segment_fixed_size 0
		.amdhsa_kernarg_size 160
		.amdhsa_user_sgpr_count 6
		.amdhsa_user_sgpr_private_segment_buffer 1
		.amdhsa_user_sgpr_dispatch_ptr 0
		.amdhsa_user_sgpr_queue_ptr 0
		.amdhsa_user_sgpr_kernarg_segment_ptr 1
		.amdhsa_user_sgpr_dispatch_id 0
		.amdhsa_user_sgpr_flat_scratch_init 0
		.amdhsa_user_sgpr_private_segment_size 0
		.amdhsa_wavefront_size32 1
		.amdhsa_uses_dynamic_stack 0
		.amdhsa_system_sgpr_private_segment_wavefront_offset 0
		.amdhsa_system_sgpr_workgroup_id_x 1
		.amdhsa_system_sgpr_workgroup_id_y 0
		.amdhsa_system_sgpr_workgroup_id_z 0
		.amdhsa_system_sgpr_workgroup_info 0
		.amdhsa_system_vgpr_workitem_id 0
		.amdhsa_next_free_vgpr 31
		.amdhsa_next_free_sgpr 52
		.amdhsa_reserve_vcc 1
		.amdhsa_reserve_flat_scratch 0
		.amdhsa_float_round_mode_32 0
		.amdhsa_float_round_mode_16_64 0
		.amdhsa_float_denorm_mode_32 3
		.amdhsa_float_denorm_mode_16_64 3
		.amdhsa_dx10_clamp 1
		.amdhsa_ieee_mode 1
		.amdhsa_fp16_overflow 0
		.amdhsa_workgroup_processor_mode 1
		.amdhsa_memory_ordered 1
		.amdhsa_forward_progress 1
		.amdhsa_shared_vgpr_count 0
		.amdhsa_exception_fp_ieee_invalid_op 0
		.amdhsa_exception_fp_denorm_src 0
		.amdhsa_exception_fp_ieee_div_zero 0
		.amdhsa_exception_fp_ieee_overflow 0
		.amdhsa_exception_fp_ieee_underflow 0
		.amdhsa_exception_fp_ieee_inexact 0
		.amdhsa_exception_int_div_zero 0
	.end_amdhsa_kernel
	.section	.text._ZN9rocsparseL17kernel_correctionILi1024ELi16EdiiEEvT3_T2_PKS2_S4_PKS1_PKT1_21rocsparse_index_base_S4_S4_S6_S9_PS7_SA_S4_S4_S6_S9_SB_SA_S9_SB_,"axG",@progbits,_ZN9rocsparseL17kernel_correctionILi1024ELi16EdiiEEvT3_T2_PKS2_S4_PKS1_PKT1_21rocsparse_index_base_S4_S4_S6_S9_PS7_SA_S4_S4_S6_S9_SB_SA_S9_SB_,comdat
.Lfunc_end18:
	.size	_ZN9rocsparseL17kernel_correctionILi1024ELi16EdiiEEvT3_T2_PKS2_S4_PKS1_PKT1_21rocsparse_index_base_S4_S4_S6_S9_PS7_SA_S4_S4_S6_S9_SB_SA_S9_SB_, .Lfunc_end18-_ZN9rocsparseL17kernel_correctionILi1024ELi16EdiiEEvT3_T2_PKS2_S4_PKS1_PKT1_21rocsparse_index_base_S4_S4_S6_S9_PS7_SA_S4_S4_S6_S9_SB_SA_S9_SB_
                                        ; -- End function
	.set _ZN9rocsparseL17kernel_correctionILi1024ELi16EdiiEEvT3_T2_PKS2_S4_PKS1_PKT1_21rocsparse_index_base_S4_S4_S6_S9_PS7_SA_S4_S4_S6_S9_SB_SA_S9_SB_.num_vgpr, 31
	.set _ZN9rocsparseL17kernel_correctionILi1024ELi16EdiiEEvT3_T2_PKS2_S4_PKS1_PKT1_21rocsparse_index_base_S4_S4_S6_S9_PS7_SA_S4_S4_S6_S9_SB_SA_S9_SB_.num_agpr, 0
	.set _ZN9rocsparseL17kernel_correctionILi1024ELi16EdiiEEvT3_T2_PKS2_S4_PKS1_PKT1_21rocsparse_index_base_S4_S4_S6_S9_PS7_SA_S4_S4_S6_S9_SB_SA_S9_SB_.numbered_sgpr, 52
	.set _ZN9rocsparseL17kernel_correctionILi1024ELi16EdiiEEvT3_T2_PKS2_S4_PKS1_PKT1_21rocsparse_index_base_S4_S4_S6_S9_PS7_SA_S4_S4_S6_S9_SB_SA_S9_SB_.num_named_barrier, 0
	.set _ZN9rocsparseL17kernel_correctionILi1024ELi16EdiiEEvT3_T2_PKS2_S4_PKS1_PKT1_21rocsparse_index_base_S4_S4_S6_S9_PS7_SA_S4_S4_S6_S9_SB_SA_S9_SB_.private_seg_size, 0
	.set _ZN9rocsparseL17kernel_correctionILi1024ELi16EdiiEEvT3_T2_PKS2_S4_PKS1_PKT1_21rocsparse_index_base_S4_S4_S6_S9_PS7_SA_S4_S4_S6_S9_SB_SA_S9_SB_.uses_vcc, 1
	.set _ZN9rocsparseL17kernel_correctionILi1024ELi16EdiiEEvT3_T2_PKS2_S4_PKS1_PKT1_21rocsparse_index_base_S4_S4_S6_S9_PS7_SA_S4_S4_S6_S9_SB_SA_S9_SB_.uses_flat_scratch, 0
	.set _ZN9rocsparseL17kernel_correctionILi1024ELi16EdiiEEvT3_T2_PKS2_S4_PKS1_PKT1_21rocsparse_index_base_S4_S4_S6_S9_PS7_SA_S4_S4_S6_S9_SB_SA_S9_SB_.has_dyn_sized_stack, 0
	.set _ZN9rocsparseL17kernel_correctionILi1024ELi16EdiiEEvT3_T2_PKS2_S4_PKS1_PKT1_21rocsparse_index_base_S4_S4_S6_S9_PS7_SA_S4_S4_S6_S9_SB_SA_S9_SB_.has_recursion, 0
	.set _ZN9rocsparseL17kernel_correctionILi1024ELi16EdiiEEvT3_T2_PKS2_S4_PKS1_PKT1_21rocsparse_index_base_S4_S4_S6_S9_PS7_SA_S4_S4_S6_S9_SB_SA_S9_SB_.has_indirect_call, 0
	.section	.AMDGPU.csdata,"",@progbits
; Kernel info:
; codeLenInByte = 1728
; TotalNumSgprs: 54
; NumVgprs: 31
; ScratchSize: 0
; MemoryBound: 1
; FloatMode: 240
; IeeeMode: 1
; LDSByteSize: 0 bytes/workgroup (compile time only)
; SGPRBlocks: 0
; VGPRBlocks: 3
; NumSGPRsForWavesPerEU: 54
; NumVGPRsForWavesPerEU: 31
; Occupancy: 16
; WaveLimiterHint : 1
; COMPUTE_PGM_RSRC2:SCRATCH_EN: 0
; COMPUTE_PGM_RSRC2:USER_SGPR: 6
; COMPUTE_PGM_RSRC2:TRAP_HANDLER: 0
; COMPUTE_PGM_RSRC2:TGID_X_EN: 1
; COMPUTE_PGM_RSRC2:TGID_Y_EN: 0
; COMPUTE_PGM_RSRC2:TGID_Z_EN: 0
; COMPUTE_PGM_RSRC2:TIDIG_COMP_CNT: 0
	.section	.text._ZN9rocsparseL17kernel_correctionILi1024ELi32EdiiEEvT3_T2_PKS2_S4_PKS1_PKT1_21rocsparse_index_base_S4_S4_S6_S9_PS7_SA_S4_S4_S6_S9_SB_SA_S9_SB_,"axG",@progbits,_ZN9rocsparseL17kernel_correctionILi1024ELi32EdiiEEvT3_T2_PKS2_S4_PKS1_PKT1_21rocsparse_index_base_S4_S4_S6_S9_PS7_SA_S4_S4_S6_S9_SB_SA_S9_SB_,comdat
	.globl	_ZN9rocsparseL17kernel_correctionILi1024ELi32EdiiEEvT3_T2_PKS2_S4_PKS1_PKT1_21rocsparse_index_base_S4_S4_S6_S9_PS7_SA_S4_S4_S6_S9_SB_SA_S9_SB_ ; -- Begin function _ZN9rocsparseL17kernel_correctionILi1024ELi32EdiiEEvT3_T2_PKS2_S4_PKS1_PKT1_21rocsparse_index_base_S4_S4_S6_S9_PS7_SA_S4_S4_S6_S9_SB_SA_S9_SB_
	.p2align	8
	.type	_ZN9rocsparseL17kernel_correctionILi1024ELi32EdiiEEvT3_T2_PKS2_S4_PKS1_PKT1_21rocsparse_index_base_S4_S4_S6_S9_PS7_SA_S4_S4_S6_S9_SB_SA_S9_SB_,@function
_ZN9rocsparseL17kernel_correctionILi1024ELi32EdiiEEvT3_T2_PKS2_S4_PKS1_PKT1_21rocsparse_index_base_S4_S4_S6_S9_PS7_SA_S4_S4_S6_S9_SB_SA_S9_SB_: ; @_ZN9rocsparseL17kernel_correctionILi1024ELi32EdiiEEvT3_T2_PKS2_S4_PKS1_PKT1_21rocsparse_index_base_S4_S4_S6_S9_PS7_SA_S4_S4_S6_S9_SB_SA_S9_SB_
; %bb.0:
	s_load_dword s33, s[4:5], 0x0
	v_lshrrev_b32_e32 v1, 5, v0
	s_lshl_b32 s34, s6, 10
	s_mov_b32 s0, exec_lo
	v_or_b32_e32 v1, s34, v1
	s_waitcnt lgkmcnt(0)
	v_cmpx_gt_i32_e64 s33, v1
	s_cbranch_execz .LBB19_40
; %bb.1:
	s_addk_i32 s34, 0x400
	v_cmp_gt_u32_e32 vcc_lo, s34, v1
	s_and_b32 exec_lo, exec_lo, vcc_lo
	s_cbranch_execz .LBB19_40
; %bb.2:
	s_clause 0x8
	s_load_dwordx4 s[36:39], s[4:5], 0x90
	s_load_dwordx8 s[8:15], s[4:5], 0x60
	s_load_dword s35, s[4:5], 0x28
	s_load_dwordx8 s[16:23], s[4:5], 0x30
	s_load_dwordx8 s[24:31], s[4:5], 0x8
	s_load_dwordx2 s[2:3], s[4:5], 0x50
	s_load_dword s40, s[4:5], 0x58
	s_load_dwordx2 s[6:7], s[4:5], 0x80
	s_load_dword s4, s[4:5], 0x88
	v_and_b32_e32 v0, 31, v0
	v_mov_b32_e32 v3, 0
	s_mov_b32 s5, 0
	s_waitcnt lgkmcnt(0)
	v_subrev_nc_u32_e32 v0, s35, v0
	s_branch .LBB19_4
.LBB19_3:                               ;   in Loop: Header=BB19_4 Depth=1
	s_or_b32 exec_lo, exec_lo, s41
	v_add_nc_u32_e32 v1, 32, v1
	v_cmp_le_u32_e32 vcc_lo, s34, v1
	s_or_b32 s5, vcc_lo, s5
	s_andn2_b32 exec_lo, exec_lo, s5
	s_cbranch_execz .LBB19_40
.LBB19_4:                               ; =>This Loop Header: Depth=1
                                        ;     Child Loop BB19_8 Depth 2
                                        ;       Child Loop BB19_12 Depth 3
                                        ;       Child Loop BB19_26 Depth 3
	;; [unrolled: 1-line block ×3, first 2 shown]
	s_mov_b32 s41, exec_lo
	v_cmpx_gt_i32_e64 s33, v1
	s_cbranch_execz .LBB19_3
; %bb.5:                                ;   in Loop: Header=BB19_4 Depth=1
	v_ashrrev_i32_e32 v2, 31, v1
	v_lshlrev_b64 v[5:6], 2, v[1:2]
	v_add_co_u32 v7, vcc_lo, s24, v5
	v_add_co_ci_u32_e64 v8, null, s25, v6, vcc_lo
	v_add_co_u32 v9, vcc_lo, s26, v5
	v_add_co_ci_u32_e64 v10, null, s27, v6, vcc_lo
	global_load_dword v2, v[7:8], off
	global_load_dword v7, v[9:10], off
	s_waitcnt vmcnt(1)
	v_add_nc_u32_e32 v4, v0, v2
	s_waitcnt vmcnt(0)
	v_subrev_nc_u32_e32 v14, s35, v7
	v_cmp_lt_i32_e32 vcc_lo, v4, v14
	s_and_b32 exec_lo, exec_lo, vcc_lo
	s_cbranch_execz .LBB19_3
; %bb.6:                                ;   in Loop: Header=BB19_4 Depth=1
	v_add_co_u32 v7, vcc_lo, s16, v5
	v_add_co_ci_u32_e64 v8, null, s17, v6, vcc_lo
	v_add_co_u32 v5, vcc_lo, s18, v5
	v_add_co_ci_u32_e64 v6, null, s19, v6, vcc_lo
	global_load_dword v2, v[7:8], off
	s_mov_b32 s42, 0
	global_load_dword v5, v[5:6], off
	s_waitcnt vmcnt(1)
	v_subrev_nc_u32_e32 v6, s40, v2
	s_waitcnt vmcnt(0)
	v_sub_nc_u32_e32 v15, v5, v2
	v_ashrrev_i32_e32 v7, 31, v6
	v_cmp_lt_i32_e64 s0, 0, v15
	v_lshlrev_b64 v[8:9], 2, v[6:7]
	v_lshlrev_b64 v[10:11], 3, v[6:7]
	v_add_co_u32 v16, vcc_lo, s20, v8
	v_add_co_ci_u32_e64 v17, null, s21, v9, vcc_lo
	v_add_co_u32 v18, vcc_lo, s22, v10
	v_add_co_ci_u32_e64 v19, null, s23, v11, vcc_lo
	s_branch .LBB19_8
.LBB19_7:                               ;   in Loop: Header=BB19_8 Depth=2
	s_or_b32 exec_lo, exec_lo, s43
	v_add_nc_u32_e32 v4, 32, v4
	v_cmp_ge_i32_e32 vcc_lo, v4, v14
	s_or_b32 s42, vcc_lo, s42
	s_andn2_b32 exec_lo, exec_lo, s42
	s_cbranch_execz .LBB19_3
.LBB19_8:                               ;   Parent Loop BB19_4 Depth=1
                                        ; =>  This Loop Header: Depth=2
                                        ;       Child Loop BB19_12 Depth 3
                                        ;       Child Loop BB19_26 Depth 3
	;; [unrolled: 1-line block ×3, first 2 shown]
	v_ashrrev_i32_e32 v5, 31, v4
	v_lshlrev_b64 v[7:8], 2, v[4:5]
	v_add_co_u32 v7, vcc_lo, s28, v7
	v_add_co_ci_u32_e64 v8, null, s29, v8, vcc_lo
	global_load_dword v2, v[7:8], off
	s_waitcnt vmcnt(0)
	v_subrev_nc_u32_e32 v7, s35, v2
	v_ashrrev_i32_e32 v8, 31, v7
	v_lshlrev_b64 v[9:10], 2, v[7:8]
	v_add_co_u32 v11, vcc_lo, s8, v9
	v_add_co_ci_u32_e64 v12, null, s9, v10, vcc_lo
	v_add_co_u32 v9, vcc_lo, s10, v9
	v_add_co_ci_u32_e64 v10, null, s11, v10, vcc_lo
	global_load_dword v2, v[11:12], off
	global_load_dword v11, v[9:10], off
	v_mov_b32_e32 v10, 0
	v_mov_b32_e32 v12, 0
	;; [unrolled: 1-line block ×3, first 2 shown]
	s_waitcnt vmcnt(1)
	v_subrev_nc_u32_e32 v9, s4, v2
	s_waitcnt vmcnt(0)
	v_sub_nc_u32_e32 v20, v11, v2
	v_mov_b32_e32 v2, v10
	s_and_saveexec_b32 s43, s0
	s_cbranch_execz .LBB19_16
; %bb.9:                                ;   in Loop: Header=BB19_8 Depth=2
	v_ashrrev_i32_e32 v10, 31, v9
	v_mov_b32_e32 v12, 0
	v_mov_b32_e32 v13, 0
	;; [unrolled: 1-line block ×3, first 2 shown]
	s_mov_b32 s44, 0
	v_lshlrev_b64 v[21:22], 2, v[9:10]
	v_lshlrev_b64 v[10:11], 3, v[9:10]
                                        ; implicit-def: $sgpr45
	v_add_co_u32 v21, vcc_lo, s12, v21
	v_add_co_ci_u32_e64 v22, null, s13, v22, vcc_lo
	v_add_co_u32 v23, vcc_lo, s14, v10
	v_add_co_ci_u32_e64 v24, null, s15, v11, vcc_lo
	v_mov_b32_e32 v10, 0
	s_branch .LBB19_12
.LBB19_10:                              ;   in Loop: Header=BB19_12 Depth=3
	s_or_b32 exec_lo, exec_lo, s1
	v_cmp_le_i32_e32 vcc_lo, v25, v26
	v_cmp_ge_i32_e64 s1, v25, v26
	v_add_co_ci_u32_e64 v2, null, 0, v2, vcc_lo
	v_add_co_ci_u32_e64 v10, null, 0, v10, s1
	s_andn2_b32 s1, s45, exec_lo
	v_cmp_ge_i32_e32 vcc_lo, v2, v15
	s_and_b32 s45, vcc_lo, exec_lo
	s_or_b32 s45, s1, s45
.LBB19_11:                              ;   in Loop: Header=BB19_12 Depth=3
	s_or_b32 exec_lo, exec_lo, s46
	s_and_b32 s1, exec_lo, s45
	s_or_b32 s44, s1, s44
	s_andn2_b32 exec_lo, exec_lo, s44
	s_cbranch_execz .LBB19_15
.LBB19_12:                              ;   Parent Loop BB19_4 Depth=1
                                        ;     Parent Loop BB19_8 Depth=2
                                        ; =>    This Inner Loop Header: Depth=3
	s_or_b32 s45, s45, exec_lo
	s_mov_b32 s46, exec_lo
	v_cmpx_lt_i32_e64 v10, v20
	s_cbranch_execz .LBB19_11
; %bb.13:                               ;   in Loop: Header=BB19_12 Depth=3
	v_mov_b32_e32 v11, v3
	v_lshlrev_b64 v[25:26], 2, v[2:3]
	s_mov_b32 s1, exec_lo
	v_lshlrev_b64 v[27:28], 2, v[10:11]
	v_add_co_u32 v25, vcc_lo, v16, v25
	v_add_co_ci_u32_e64 v26, null, v17, v26, vcc_lo
	v_add_co_u32 v27, vcc_lo, v21, v27
	v_add_co_ci_u32_e64 v28, null, v22, v28, vcc_lo
	global_load_dword v25, v[25:26], off
	global_load_dword v26, v[27:28], off
	s_waitcnt vmcnt(1)
	v_subrev_nc_u32_e32 v25, s40, v25
	s_waitcnt vmcnt(0)
	v_subrev_nc_u32_e32 v26, s4, v26
	v_cmpx_eq_u32_e64 v25, v26
	s_cbranch_execz .LBB19_10
; %bb.14:                               ;   in Loop: Header=BB19_12 Depth=3
	v_lshlrev_b64 v[27:28], 3, v[2:3]
	v_lshlrev_b64 v[29:30], 3, v[10:11]
	v_add_co_u32 v27, vcc_lo, v18, v27
	v_add_co_ci_u32_e64 v28, null, v19, v28, vcc_lo
	v_add_co_u32 v29, vcc_lo, v23, v29
	v_add_co_ci_u32_e64 v30, null, v24, v30, vcc_lo
	global_load_dwordx2 v[27:28], v[27:28], off
	global_load_dwordx2 v[29:30], v[29:30], off
	s_waitcnt vmcnt(0)
	v_fma_f64 v[12:13], v[27:28], v[29:30], v[12:13]
	s_branch .LBB19_10
.LBB19_15:                              ;   in Loop: Header=BB19_8 Depth=2
	s_or_b32 exec_lo, exec_lo, s44
.LBB19_16:                              ;   in Loop: Header=BB19_8 Depth=2
	s_or_b32 exec_lo, exec_lo, s43
	v_lshlrev_b64 v[21:22], 3, v[4:5]
	v_cmp_le_i32_e64 s1, v1, v7
	s_mov_b32 s43, exec_lo
	v_add_co_u32 v21, vcc_lo, s30, v21
	v_add_co_ci_u32_e64 v22, null, s31, v22, vcc_lo
	global_load_dwordx2 v[21:22], v[21:22], off
	s_waitcnt vmcnt(0)
	v_add_f64 v[11:12], v[21:22], -v[12:13]
	v_cmpx_gt_i32_e64 v1, v7
	s_cbranch_execz .LBB19_18
; %bb.17:                               ;   in Loop: Header=BB19_8 Depth=2
	v_lshlrev_b64 v[21:22], 3, v[7:8]
	v_add_co_u32 v21, vcc_lo, s36, v21
	v_add_co_ci_u32_e64 v22, null, s37, v22, vcc_lo
	global_load_dwordx2 v[21:22], v[21:22], off
	s_waitcnt vmcnt(0)
	v_div_scale_f64 v[23:24], null, v[21:22], v[21:22], v[11:12]
	v_rcp_f64_e32 v[25:26], v[23:24]
	v_fma_f64 v[27:28], -v[23:24], v[25:26], 1.0
	v_fma_f64 v[25:26], v[25:26], v[27:28], v[25:26]
	v_fma_f64 v[27:28], -v[23:24], v[25:26], 1.0
	v_fma_f64 v[25:26], v[25:26], v[27:28], v[25:26]
	v_div_scale_f64 v[27:28], vcc_lo, v[11:12], v[21:22], v[11:12]
	v_mul_f64 v[29:30], v[27:28], v[25:26]
	v_fma_f64 v[23:24], -v[23:24], v[29:30], v[27:28]
	v_div_fmas_f64 v[23:24], v[23:24], v[25:26], v[29:30]
	v_div_fixup_f64 v[11:12], v[23:24], v[21:22], v[11:12]
.LBB19_18:                              ;   in Loop: Header=BB19_8 Depth=2
	s_or_b32 exec_lo, exec_lo, s43
	v_cmp_class_f64_e64 s44, v[11:12], 0x1f8
	s_and_saveexec_b32 s43, s44
	s_cbranch_execz .LBB19_7
; %bb.19:                               ;   in Loop: Header=BB19_8 Depth=2
	s_and_saveexec_b32 s44, s1
	s_xor_b32 s1, exec_lo, s44
	s_cbranch_execz .LBB19_32
; %bb.20:                               ;   in Loop: Header=BB19_8 Depth=2
	s_mov_b32 s44, exec_lo
	v_cmpx_ge_i32_e64 v1, v7
	s_xor_b32 s44, exec_lo, s44
	s_cbranch_execz .LBB19_22
; %bb.21:                               ;   in Loop: Header=BB19_8 Depth=2
	v_lshlrev_b64 v[7:8], 3, v[7:8]
                                        ; implicit-def: $vgpr10
                                        ; implicit-def: $vgpr20
                                        ; implicit-def: $vgpr9
	v_add_co_u32 v7, vcc_lo, s38, v7
	v_add_co_ci_u32_e64 v8, null, s39, v8, vcc_lo
	global_store_dwordx2 v[7:8], v[11:12], off
                                        ; implicit-def: $vgpr11_vgpr12
.LBB19_22:                              ;   in Loop: Header=BB19_8 Depth=2
	s_andn2_saveexec_b32 s44, s44
	s_cbranch_execz .LBB19_31
; %bb.23:                               ;   in Loop: Header=BB19_8 Depth=2
	s_mov_b32 s45, exec_lo
	v_cmpx_lt_i32_e64 v10, v20
	s_cbranch_execz .LBB19_30
; %bb.24:                               ;   in Loop: Header=BB19_8 Depth=2
	s_mov_b32 s46, 0
                                        ; implicit-def: $sgpr47
                                        ; implicit-def: $sgpr49
                                        ; implicit-def: $sgpr48
	s_inst_prefetch 0x1
	s_branch .LBB19_26
	.p2align	6
.LBB19_25:                              ;   in Loop: Header=BB19_26 Depth=3
	s_or_b32 exec_lo, exec_lo, s50
	s_and_b32 s50, exec_lo, s49
	s_or_b32 s46, s50, s46
	s_andn2_b32 s47, s47, exec_lo
	s_and_b32 s50, s48, exec_lo
	s_or_b32 s47, s47, s50
	s_andn2_b32 exec_lo, exec_lo, s46
	s_cbranch_execz .LBB19_28
.LBB19_26:                              ;   Parent Loop BB19_4 Depth=1
                                        ;     Parent Loop BB19_8 Depth=2
                                        ; =>    This Inner Loop Header: Depth=3
	v_add_nc_u32_e32 v7, v9, v10
	s_or_b32 s48, s48, exec_lo
	s_or_b32 s49, s49, exec_lo
	s_mov_b32 s50, exec_lo
	v_ashrrev_i32_e32 v8, 31, v7
	v_lshlrev_b64 v[21:22], 2, v[7:8]
	v_add_co_u32 v21, vcc_lo, s12, v21
	v_add_co_ci_u32_e64 v22, null, s13, v22, vcc_lo
	global_load_dword v2, v[21:22], off
	s_waitcnt vmcnt(0)
	v_subrev_nc_u32_e32 v2, s4, v2
	v_cmpx_ne_u32_e64 v2, v1
	s_cbranch_execz .LBB19_25
; %bb.27:                               ;   in Loop: Header=BB19_26 Depth=3
	v_add_nc_u32_e32 v10, 1, v10
	s_andn2_b32 s49, s49, exec_lo
	s_andn2_b32 s48, s48, exec_lo
	v_cmp_ge_i32_e32 vcc_lo, v10, v20
	s_and_b32 s51, vcc_lo, exec_lo
	s_or_b32 s49, s49, s51
	s_branch .LBB19_25
.LBB19_28:                              ;   in Loop: Header=BB19_8 Depth=2
	s_inst_prefetch 0x2
	s_or_b32 exec_lo, exec_lo, s46
	s_and_saveexec_b32 s46, s47
	s_xor_b32 s46, exec_lo, s46
	s_cbranch_execz .LBB19_30
; %bb.29:                               ;   in Loop: Header=BB19_8 Depth=2
	v_lshlrev_b64 v[7:8], 3, v[7:8]
	v_add_co_u32 v7, vcc_lo, s6, v7
	v_add_co_ci_u32_e64 v8, null, s7, v8, vcc_lo
	global_store_dwordx2 v[7:8], v[11:12], off
.LBB19_30:                              ;   in Loop: Header=BB19_8 Depth=2
	s_or_b32 exec_lo, exec_lo, s45
.LBB19_31:                              ;   in Loop: Header=BB19_8 Depth=2
	s_or_b32 exec_lo, exec_lo, s44
                                        ; implicit-def: $vgpr11_vgpr12
                                        ; implicit-def: $vgpr7_vgpr8
.LBB19_32:                              ;   in Loop: Header=BB19_8 Depth=2
	s_andn2_saveexec_b32 s1, s1
	s_cbranch_execz .LBB19_7
; %bb.33:                               ;   in Loop: Header=BB19_8 Depth=2
	v_cmp_lt_i32_e32 vcc_lo, v2, v15
	s_and_b32 exec_lo, exec_lo, vcc_lo
	s_cbranch_execz .LBB19_7
; %bb.34:                               ;   in Loop: Header=BB19_8 Depth=2
	s_mov_b32 s1, 0
                                        ; implicit-def: $sgpr44
                                        ; implicit-def: $sgpr46
                                        ; implicit-def: $sgpr45
	s_inst_prefetch 0x1
	s_branch .LBB19_36
	.p2align	6
.LBB19_35:                              ;   in Loop: Header=BB19_36 Depth=3
	s_or_b32 exec_lo, exec_lo, s47
	s_and_b32 s47, exec_lo, s46
	s_or_b32 s1, s47, s1
	s_andn2_b32 s44, s44, exec_lo
	s_and_b32 s47, s45, exec_lo
	s_or_b32 s44, s44, s47
	s_andn2_b32 exec_lo, exec_lo, s1
	s_cbranch_execz .LBB19_38
.LBB19_36:                              ;   Parent Loop BB19_4 Depth=1
                                        ;     Parent Loop BB19_8 Depth=2
                                        ; =>    This Inner Loop Header: Depth=3
	v_add_nc_u32_e32 v8, v6, v2
	s_or_b32 s45, s45, exec_lo
	s_or_b32 s46, s46, exec_lo
	s_mov_b32 s47, exec_lo
	v_ashrrev_i32_e32 v9, 31, v8
	v_lshlrev_b64 v[20:21], 2, v[8:9]
	v_add_co_u32 v20, vcc_lo, s20, v20
	v_add_co_ci_u32_e64 v21, null, s21, v21, vcc_lo
	global_load_dword v5, v[20:21], off
	s_waitcnt vmcnt(0)
	v_subrev_nc_u32_e32 v5, s40, v5
	v_cmpx_ne_u32_e64 v5, v7
	s_cbranch_execz .LBB19_35
; %bb.37:                               ;   in Loop: Header=BB19_36 Depth=3
	v_add_nc_u32_e32 v2, 1, v2
	s_andn2_b32 s46, s46, exec_lo
	s_andn2_b32 s45, s45, exec_lo
	v_cmp_ge_i32_e32 vcc_lo, v2, v15
	s_and_b32 s48, vcc_lo, exec_lo
	s_or_b32 s46, s46, s48
	s_branch .LBB19_35
.LBB19_38:                              ;   in Loop: Header=BB19_8 Depth=2
	s_inst_prefetch 0x2
	s_or_b32 exec_lo, exec_lo, s1
	s_and_saveexec_b32 s1, s44
	s_xor_b32 s1, exec_lo, s1
	s_cbranch_execz .LBB19_7
; %bb.39:                               ;   in Loop: Header=BB19_8 Depth=2
	v_lshlrev_b64 v[7:8], 3, v[8:9]
	v_add_co_u32 v7, vcc_lo, s2, v7
	v_add_co_ci_u32_e64 v8, null, s3, v8, vcc_lo
	global_store_dwordx2 v[7:8], v[11:12], off
	s_branch .LBB19_7
.LBB19_40:
	s_endpgm
	.section	.rodata,"a",@progbits
	.p2align	6, 0x0
	.amdhsa_kernel _ZN9rocsparseL17kernel_correctionILi1024ELi32EdiiEEvT3_T2_PKS2_S4_PKS1_PKT1_21rocsparse_index_base_S4_S4_S6_S9_PS7_SA_S4_S4_S6_S9_SB_SA_S9_SB_
		.amdhsa_group_segment_fixed_size 0
		.amdhsa_private_segment_fixed_size 0
		.amdhsa_kernarg_size 160
		.amdhsa_user_sgpr_count 6
		.amdhsa_user_sgpr_private_segment_buffer 1
		.amdhsa_user_sgpr_dispatch_ptr 0
		.amdhsa_user_sgpr_queue_ptr 0
		.amdhsa_user_sgpr_kernarg_segment_ptr 1
		.amdhsa_user_sgpr_dispatch_id 0
		.amdhsa_user_sgpr_flat_scratch_init 0
		.amdhsa_user_sgpr_private_segment_size 0
		.amdhsa_wavefront_size32 1
		.amdhsa_uses_dynamic_stack 0
		.amdhsa_system_sgpr_private_segment_wavefront_offset 0
		.amdhsa_system_sgpr_workgroup_id_x 1
		.amdhsa_system_sgpr_workgroup_id_y 0
		.amdhsa_system_sgpr_workgroup_id_z 0
		.amdhsa_system_sgpr_workgroup_info 0
		.amdhsa_system_vgpr_workitem_id 0
		.amdhsa_next_free_vgpr 31
		.amdhsa_next_free_sgpr 52
		.amdhsa_reserve_vcc 1
		.amdhsa_reserve_flat_scratch 0
		.amdhsa_float_round_mode_32 0
		.amdhsa_float_round_mode_16_64 0
		.amdhsa_float_denorm_mode_32 3
		.amdhsa_float_denorm_mode_16_64 3
		.amdhsa_dx10_clamp 1
		.amdhsa_ieee_mode 1
		.amdhsa_fp16_overflow 0
		.amdhsa_workgroup_processor_mode 1
		.amdhsa_memory_ordered 1
		.amdhsa_forward_progress 1
		.amdhsa_shared_vgpr_count 0
		.amdhsa_exception_fp_ieee_invalid_op 0
		.amdhsa_exception_fp_denorm_src 0
		.amdhsa_exception_fp_ieee_div_zero 0
		.amdhsa_exception_fp_ieee_overflow 0
		.amdhsa_exception_fp_ieee_underflow 0
		.amdhsa_exception_fp_ieee_inexact 0
		.amdhsa_exception_int_div_zero 0
	.end_amdhsa_kernel
	.section	.text._ZN9rocsparseL17kernel_correctionILi1024ELi32EdiiEEvT3_T2_PKS2_S4_PKS1_PKT1_21rocsparse_index_base_S4_S4_S6_S9_PS7_SA_S4_S4_S6_S9_SB_SA_S9_SB_,"axG",@progbits,_ZN9rocsparseL17kernel_correctionILi1024ELi32EdiiEEvT3_T2_PKS2_S4_PKS1_PKT1_21rocsparse_index_base_S4_S4_S6_S9_PS7_SA_S4_S4_S6_S9_SB_SA_S9_SB_,comdat
.Lfunc_end19:
	.size	_ZN9rocsparseL17kernel_correctionILi1024ELi32EdiiEEvT3_T2_PKS2_S4_PKS1_PKT1_21rocsparse_index_base_S4_S4_S6_S9_PS7_SA_S4_S4_S6_S9_SB_SA_S9_SB_, .Lfunc_end19-_ZN9rocsparseL17kernel_correctionILi1024ELi32EdiiEEvT3_T2_PKS2_S4_PKS1_PKT1_21rocsparse_index_base_S4_S4_S6_S9_PS7_SA_S4_S4_S6_S9_SB_SA_S9_SB_
                                        ; -- End function
	.set _ZN9rocsparseL17kernel_correctionILi1024ELi32EdiiEEvT3_T2_PKS2_S4_PKS1_PKT1_21rocsparse_index_base_S4_S4_S6_S9_PS7_SA_S4_S4_S6_S9_SB_SA_S9_SB_.num_vgpr, 31
	.set _ZN9rocsparseL17kernel_correctionILi1024ELi32EdiiEEvT3_T2_PKS2_S4_PKS1_PKT1_21rocsparse_index_base_S4_S4_S6_S9_PS7_SA_S4_S4_S6_S9_SB_SA_S9_SB_.num_agpr, 0
	.set _ZN9rocsparseL17kernel_correctionILi1024ELi32EdiiEEvT3_T2_PKS2_S4_PKS1_PKT1_21rocsparse_index_base_S4_S4_S6_S9_PS7_SA_S4_S4_S6_S9_SB_SA_S9_SB_.numbered_sgpr, 52
	.set _ZN9rocsparseL17kernel_correctionILi1024ELi32EdiiEEvT3_T2_PKS2_S4_PKS1_PKT1_21rocsparse_index_base_S4_S4_S6_S9_PS7_SA_S4_S4_S6_S9_SB_SA_S9_SB_.num_named_barrier, 0
	.set _ZN9rocsparseL17kernel_correctionILi1024ELi32EdiiEEvT3_T2_PKS2_S4_PKS1_PKT1_21rocsparse_index_base_S4_S4_S6_S9_PS7_SA_S4_S4_S6_S9_SB_SA_S9_SB_.private_seg_size, 0
	.set _ZN9rocsparseL17kernel_correctionILi1024ELi32EdiiEEvT3_T2_PKS2_S4_PKS1_PKT1_21rocsparse_index_base_S4_S4_S6_S9_PS7_SA_S4_S4_S6_S9_SB_SA_S9_SB_.uses_vcc, 1
	.set _ZN9rocsparseL17kernel_correctionILi1024ELi32EdiiEEvT3_T2_PKS2_S4_PKS1_PKT1_21rocsparse_index_base_S4_S4_S6_S9_PS7_SA_S4_S4_S6_S9_SB_SA_S9_SB_.uses_flat_scratch, 0
	.set _ZN9rocsparseL17kernel_correctionILi1024ELi32EdiiEEvT3_T2_PKS2_S4_PKS1_PKT1_21rocsparse_index_base_S4_S4_S6_S9_PS7_SA_S4_S4_S6_S9_SB_SA_S9_SB_.has_dyn_sized_stack, 0
	.set _ZN9rocsparseL17kernel_correctionILi1024ELi32EdiiEEvT3_T2_PKS2_S4_PKS1_PKT1_21rocsparse_index_base_S4_S4_S6_S9_PS7_SA_S4_S4_S6_S9_SB_SA_S9_SB_.has_recursion, 0
	.set _ZN9rocsparseL17kernel_correctionILi1024ELi32EdiiEEvT3_T2_PKS2_S4_PKS1_PKT1_21rocsparse_index_base_S4_S4_S6_S9_PS7_SA_S4_S4_S6_S9_SB_SA_S9_SB_.has_indirect_call, 0
	.section	.AMDGPU.csdata,"",@progbits
; Kernel info:
; codeLenInByte = 1728
; TotalNumSgprs: 54
; NumVgprs: 31
; ScratchSize: 0
; MemoryBound: 1
; FloatMode: 240
; IeeeMode: 1
; LDSByteSize: 0 bytes/workgroup (compile time only)
; SGPRBlocks: 0
; VGPRBlocks: 3
; NumSGPRsForWavesPerEU: 54
; NumVGPRsForWavesPerEU: 31
; Occupancy: 16
; WaveLimiterHint : 1
; COMPUTE_PGM_RSRC2:SCRATCH_EN: 0
; COMPUTE_PGM_RSRC2:USER_SGPR: 6
; COMPUTE_PGM_RSRC2:TRAP_HANDLER: 0
; COMPUTE_PGM_RSRC2:TGID_X_EN: 1
; COMPUTE_PGM_RSRC2:TGID_Y_EN: 0
; COMPUTE_PGM_RSRC2:TGID_Z_EN: 0
; COMPUTE_PGM_RSRC2:TIDIG_COMP_CNT: 0
	.section	.text._ZN9rocsparseL17kernel_correctionILi1024ELi64EdiiEEvT3_T2_PKS2_S4_PKS1_PKT1_21rocsparse_index_base_S4_S4_S6_S9_PS7_SA_S4_S4_S6_S9_SB_SA_S9_SB_,"axG",@progbits,_ZN9rocsparseL17kernel_correctionILi1024ELi64EdiiEEvT3_T2_PKS2_S4_PKS1_PKT1_21rocsparse_index_base_S4_S4_S6_S9_PS7_SA_S4_S4_S6_S9_SB_SA_S9_SB_,comdat
	.globl	_ZN9rocsparseL17kernel_correctionILi1024ELi64EdiiEEvT3_T2_PKS2_S4_PKS1_PKT1_21rocsparse_index_base_S4_S4_S6_S9_PS7_SA_S4_S4_S6_S9_SB_SA_S9_SB_ ; -- Begin function _ZN9rocsparseL17kernel_correctionILi1024ELi64EdiiEEvT3_T2_PKS2_S4_PKS1_PKT1_21rocsparse_index_base_S4_S4_S6_S9_PS7_SA_S4_S4_S6_S9_SB_SA_S9_SB_
	.p2align	8
	.type	_ZN9rocsparseL17kernel_correctionILi1024ELi64EdiiEEvT3_T2_PKS2_S4_PKS1_PKT1_21rocsparse_index_base_S4_S4_S6_S9_PS7_SA_S4_S4_S6_S9_SB_SA_S9_SB_,@function
_ZN9rocsparseL17kernel_correctionILi1024ELi64EdiiEEvT3_T2_PKS2_S4_PKS1_PKT1_21rocsparse_index_base_S4_S4_S6_S9_PS7_SA_S4_S4_S6_S9_SB_SA_S9_SB_: ; @_ZN9rocsparseL17kernel_correctionILi1024ELi64EdiiEEvT3_T2_PKS2_S4_PKS1_PKT1_21rocsparse_index_base_S4_S4_S6_S9_PS7_SA_S4_S4_S6_S9_SB_SA_S9_SB_
; %bb.0:
	s_load_dword s33, s[4:5], 0x0
	v_lshrrev_b32_e32 v1, 6, v0
	s_lshl_b32 s34, s6, 10
	s_mov_b32 s0, exec_lo
	v_or_b32_e32 v1, s34, v1
	s_waitcnt lgkmcnt(0)
	v_cmpx_gt_i32_e64 s33, v1
	s_cbranch_execz .LBB20_40
; %bb.1:
	s_addk_i32 s34, 0x400
	v_cmp_gt_u32_e32 vcc_lo, s34, v1
	s_and_b32 exec_lo, exec_lo, vcc_lo
	s_cbranch_execz .LBB20_40
; %bb.2:
	s_clause 0x8
	s_load_dwordx4 s[36:39], s[4:5], 0x90
	s_load_dwordx8 s[8:15], s[4:5], 0x60
	s_load_dword s35, s[4:5], 0x28
	s_load_dwordx8 s[16:23], s[4:5], 0x30
	s_load_dwordx8 s[24:31], s[4:5], 0x8
	s_load_dwordx2 s[2:3], s[4:5], 0x50
	s_load_dword s40, s[4:5], 0x58
	s_load_dwordx2 s[6:7], s[4:5], 0x80
	s_load_dword s4, s[4:5], 0x88
	v_and_b32_e32 v0, 63, v0
	v_mov_b32_e32 v3, 0
	s_mov_b32 s5, 0
	s_waitcnt lgkmcnt(0)
	v_subrev_nc_u32_e32 v0, s35, v0
	s_branch .LBB20_4
.LBB20_3:                               ;   in Loop: Header=BB20_4 Depth=1
	s_or_b32 exec_lo, exec_lo, s41
	v_add_nc_u32_e32 v1, 16, v1
	v_cmp_le_u32_e32 vcc_lo, s34, v1
	s_or_b32 s5, vcc_lo, s5
	s_andn2_b32 exec_lo, exec_lo, s5
	s_cbranch_execz .LBB20_40
.LBB20_4:                               ; =>This Loop Header: Depth=1
                                        ;     Child Loop BB20_8 Depth 2
                                        ;       Child Loop BB20_12 Depth 3
                                        ;       Child Loop BB20_26 Depth 3
	;; [unrolled: 1-line block ×3, first 2 shown]
	s_mov_b32 s41, exec_lo
	v_cmpx_gt_i32_e64 s33, v1
	s_cbranch_execz .LBB20_3
; %bb.5:                                ;   in Loop: Header=BB20_4 Depth=1
	v_ashrrev_i32_e32 v2, 31, v1
	v_lshlrev_b64 v[5:6], 2, v[1:2]
	v_add_co_u32 v7, vcc_lo, s24, v5
	v_add_co_ci_u32_e64 v8, null, s25, v6, vcc_lo
	v_add_co_u32 v9, vcc_lo, s26, v5
	v_add_co_ci_u32_e64 v10, null, s27, v6, vcc_lo
	global_load_dword v2, v[7:8], off
	global_load_dword v7, v[9:10], off
	s_waitcnt vmcnt(1)
	v_add_nc_u32_e32 v4, v0, v2
	s_waitcnt vmcnt(0)
	v_subrev_nc_u32_e32 v14, s35, v7
	v_cmp_lt_i32_e32 vcc_lo, v4, v14
	s_and_b32 exec_lo, exec_lo, vcc_lo
	s_cbranch_execz .LBB20_3
; %bb.6:                                ;   in Loop: Header=BB20_4 Depth=1
	v_add_co_u32 v7, vcc_lo, s16, v5
	v_add_co_ci_u32_e64 v8, null, s17, v6, vcc_lo
	v_add_co_u32 v5, vcc_lo, s18, v5
	v_add_co_ci_u32_e64 v6, null, s19, v6, vcc_lo
	global_load_dword v2, v[7:8], off
	s_mov_b32 s42, 0
	global_load_dword v5, v[5:6], off
	s_waitcnt vmcnt(1)
	v_subrev_nc_u32_e32 v6, s40, v2
	s_waitcnt vmcnt(0)
	v_sub_nc_u32_e32 v15, v5, v2
	v_ashrrev_i32_e32 v7, 31, v6
	v_cmp_lt_i32_e64 s0, 0, v15
	v_lshlrev_b64 v[8:9], 2, v[6:7]
	v_lshlrev_b64 v[10:11], 3, v[6:7]
	v_add_co_u32 v16, vcc_lo, s20, v8
	v_add_co_ci_u32_e64 v17, null, s21, v9, vcc_lo
	v_add_co_u32 v18, vcc_lo, s22, v10
	v_add_co_ci_u32_e64 v19, null, s23, v11, vcc_lo
	s_branch .LBB20_8
.LBB20_7:                               ;   in Loop: Header=BB20_8 Depth=2
	s_or_b32 exec_lo, exec_lo, s43
	v_add_nc_u32_e32 v4, 64, v4
	v_cmp_ge_i32_e32 vcc_lo, v4, v14
	s_or_b32 s42, vcc_lo, s42
	s_andn2_b32 exec_lo, exec_lo, s42
	s_cbranch_execz .LBB20_3
.LBB20_8:                               ;   Parent Loop BB20_4 Depth=1
                                        ; =>  This Loop Header: Depth=2
                                        ;       Child Loop BB20_12 Depth 3
                                        ;       Child Loop BB20_26 Depth 3
	;; [unrolled: 1-line block ×3, first 2 shown]
	v_ashrrev_i32_e32 v5, 31, v4
	v_lshlrev_b64 v[7:8], 2, v[4:5]
	v_add_co_u32 v7, vcc_lo, s28, v7
	v_add_co_ci_u32_e64 v8, null, s29, v8, vcc_lo
	global_load_dword v2, v[7:8], off
	s_waitcnt vmcnt(0)
	v_subrev_nc_u32_e32 v7, s35, v2
	v_ashrrev_i32_e32 v8, 31, v7
	v_lshlrev_b64 v[9:10], 2, v[7:8]
	v_add_co_u32 v11, vcc_lo, s8, v9
	v_add_co_ci_u32_e64 v12, null, s9, v10, vcc_lo
	v_add_co_u32 v9, vcc_lo, s10, v9
	v_add_co_ci_u32_e64 v10, null, s11, v10, vcc_lo
	global_load_dword v2, v[11:12], off
	global_load_dword v11, v[9:10], off
	v_mov_b32_e32 v10, 0
	v_mov_b32_e32 v12, 0
	;; [unrolled: 1-line block ×3, first 2 shown]
	s_waitcnt vmcnt(1)
	v_subrev_nc_u32_e32 v9, s4, v2
	s_waitcnt vmcnt(0)
	v_sub_nc_u32_e32 v20, v11, v2
	v_mov_b32_e32 v2, v10
	s_and_saveexec_b32 s43, s0
	s_cbranch_execz .LBB20_16
; %bb.9:                                ;   in Loop: Header=BB20_8 Depth=2
	v_ashrrev_i32_e32 v10, 31, v9
	v_mov_b32_e32 v12, 0
	v_mov_b32_e32 v13, 0
	;; [unrolled: 1-line block ×3, first 2 shown]
	s_mov_b32 s44, 0
	v_lshlrev_b64 v[21:22], 2, v[9:10]
	v_lshlrev_b64 v[10:11], 3, v[9:10]
                                        ; implicit-def: $sgpr45
	v_add_co_u32 v21, vcc_lo, s12, v21
	v_add_co_ci_u32_e64 v22, null, s13, v22, vcc_lo
	v_add_co_u32 v23, vcc_lo, s14, v10
	v_add_co_ci_u32_e64 v24, null, s15, v11, vcc_lo
	v_mov_b32_e32 v10, 0
	s_branch .LBB20_12
.LBB20_10:                              ;   in Loop: Header=BB20_12 Depth=3
	s_or_b32 exec_lo, exec_lo, s1
	v_cmp_le_i32_e32 vcc_lo, v25, v26
	v_cmp_ge_i32_e64 s1, v25, v26
	v_add_co_ci_u32_e64 v2, null, 0, v2, vcc_lo
	v_add_co_ci_u32_e64 v10, null, 0, v10, s1
	s_andn2_b32 s1, s45, exec_lo
	v_cmp_ge_i32_e32 vcc_lo, v2, v15
	s_and_b32 s45, vcc_lo, exec_lo
	s_or_b32 s45, s1, s45
.LBB20_11:                              ;   in Loop: Header=BB20_12 Depth=3
	s_or_b32 exec_lo, exec_lo, s46
	s_and_b32 s1, exec_lo, s45
	s_or_b32 s44, s1, s44
	s_andn2_b32 exec_lo, exec_lo, s44
	s_cbranch_execz .LBB20_15
.LBB20_12:                              ;   Parent Loop BB20_4 Depth=1
                                        ;     Parent Loop BB20_8 Depth=2
                                        ; =>    This Inner Loop Header: Depth=3
	s_or_b32 s45, s45, exec_lo
	s_mov_b32 s46, exec_lo
	v_cmpx_lt_i32_e64 v10, v20
	s_cbranch_execz .LBB20_11
; %bb.13:                               ;   in Loop: Header=BB20_12 Depth=3
	v_mov_b32_e32 v11, v3
	v_lshlrev_b64 v[25:26], 2, v[2:3]
	s_mov_b32 s1, exec_lo
	v_lshlrev_b64 v[27:28], 2, v[10:11]
	v_add_co_u32 v25, vcc_lo, v16, v25
	v_add_co_ci_u32_e64 v26, null, v17, v26, vcc_lo
	v_add_co_u32 v27, vcc_lo, v21, v27
	v_add_co_ci_u32_e64 v28, null, v22, v28, vcc_lo
	global_load_dword v25, v[25:26], off
	global_load_dword v26, v[27:28], off
	s_waitcnt vmcnt(1)
	v_subrev_nc_u32_e32 v25, s40, v25
	s_waitcnt vmcnt(0)
	v_subrev_nc_u32_e32 v26, s4, v26
	v_cmpx_eq_u32_e64 v25, v26
	s_cbranch_execz .LBB20_10
; %bb.14:                               ;   in Loop: Header=BB20_12 Depth=3
	v_lshlrev_b64 v[27:28], 3, v[2:3]
	v_lshlrev_b64 v[29:30], 3, v[10:11]
	v_add_co_u32 v27, vcc_lo, v18, v27
	v_add_co_ci_u32_e64 v28, null, v19, v28, vcc_lo
	v_add_co_u32 v29, vcc_lo, v23, v29
	v_add_co_ci_u32_e64 v30, null, v24, v30, vcc_lo
	global_load_dwordx2 v[27:28], v[27:28], off
	global_load_dwordx2 v[29:30], v[29:30], off
	s_waitcnt vmcnt(0)
	v_fma_f64 v[12:13], v[27:28], v[29:30], v[12:13]
	s_branch .LBB20_10
.LBB20_15:                              ;   in Loop: Header=BB20_8 Depth=2
	s_or_b32 exec_lo, exec_lo, s44
.LBB20_16:                              ;   in Loop: Header=BB20_8 Depth=2
	s_or_b32 exec_lo, exec_lo, s43
	v_lshlrev_b64 v[21:22], 3, v[4:5]
	v_cmp_le_i32_e64 s1, v1, v7
	s_mov_b32 s43, exec_lo
	v_add_co_u32 v21, vcc_lo, s30, v21
	v_add_co_ci_u32_e64 v22, null, s31, v22, vcc_lo
	global_load_dwordx2 v[21:22], v[21:22], off
	s_waitcnt vmcnt(0)
	v_add_f64 v[11:12], v[21:22], -v[12:13]
	v_cmpx_gt_i32_e64 v1, v7
	s_cbranch_execz .LBB20_18
; %bb.17:                               ;   in Loop: Header=BB20_8 Depth=2
	v_lshlrev_b64 v[21:22], 3, v[7:8]
	v_add_co_u32 v21, vcc_lo, s36, v21
	v_add_co_ci_u32_e64 v22, null, s37, v22, vcc_lo
	global_load_dwordx2 v[21:22], v[21:22], off
	s_waitcnt vmcnt(0)
	v_div_scale_f64 v[23:24], null, v[21:22], v[21:22], v[11:12]
	v_rcp_f64_e32 v[25:26], v[23:24]
	v_fma_f64 v[27:28], -v[23:24], v[25:26], 1.0
	v_fma_f64 v[25:26], v[25:26], v[27:28], v[25:26]
	v_fma_f64 v[27:28], -v[23:24], v[25:26], 1.0
	v_fma_f64 v[25:26], v[25:26], v[27:28], v[25:26]
	v_div_scale_f64 v[27:28], vcc_lo, v[11:12], v[21:22], v[11:12]
	v_mul_f64 v[29:30], v[27:28], v[25:26]
	v_fma_f64 v[23:24], -v[23:24], v[29:30], v[27:28]
	v_div_fmas_f64 v[23:24], v[23:24], v[25:26], v[29:30]
	v_div_fixup_f64 v[11:12], v[23:24], v[21:22], v[11:12]
.LBB20_18:                              ;   in Loop: Header=BB20_8 Depth=2
	s_or_b32 exec_lo, exec_lo, s43
	v_cmp_class_f64_e64 s44, v[11:12], 0x1f8
	s_and_saveexec_b32 s43, s44
	s_cbranch_execz .LBB20_7
; %bb.19:                               ;   in Loop: Header=BB20_8 Depth=2
	s_and_saveexec_b32 s44, s1
	s_xor_b32 s1, exec_lo, s44
	s_cbranch_execz .LBB20_32
; %bb.20:                               ;   in Loop: Header=BB20_8 Depth=2
	s_mov_b32 s44, exec_lo
	v_cmpx_ge_i32_e64 v1, v7
	s_xor_b32 s44, exec_lo, s44
	s_cbranch_execz .LBB20_22
; %bb.21:                               ;   in Loop: Header=BB20_8 Depth=2
	v_lshlrev_b64 v[7:8], 3, v[7:8]
                                        ; implicit-def: $vgpr10
                                        ; implicit-def: $vgpr20
                                        ; implicit-def: $vgpr9
	v_add_co_u32 v7, vcc_lo, s38, v7
	v_add_co_ci_u32_e64 v8, null, s39, v8, vcc_lo
	global_store_dwordx2 v[7:8], v[11:12], off
                                        ; implicit-def: $vgpr11_vgpr12
.LBB20_22:                              ;   in Loop: Header=BB20_8 Depth=2
	s_andn2_saveexec_b32 s44, s44
	s_cbranch_execz .LBB20_31
; %bb.23:                               ;   in Loop: Header=BB20_8 Depth=2
	s_mov_b32 s45, exec_lo
	v_cmpx_lt_i32_e64 v10, v20
	s_cbranch_execz .LBB20_30
; %bb.24:                               ;   in Loop: Header=BB20_8 Depth=2
	s_mov_b32 s46, 0
                                        ; implicit-def: $sgpr47
                                        ; implicit-def: $sgpr49
                                        ; implicit-def: $sgpr48
	s_inst_prefetch 0x1
	s_branch .LBB20_26
	.p2align	6
.LBB20_25:                              ;   in Loop: Header=BB20_26 Depth=3
	s_or_b32 exec_lo, exec_lo, s50
	s_and_b32 s50, exec_lo, s49
	s_or_b32 s46, s50, s46
	s_andn2_b32 s47, s47, exec_lo
	s_and_b32 s50, s48, exec_lo
	s_or_b32 s47, s47, s50
	s_andn2_b32 exec_lo, exec_lo, s46
	s_cbranch_execz .LBB20_28
.LBB20_26:                              ;   Parent Loop BB20_4 Depth=1
                                        ;     Parent Loop BB20_8 Depth=2
                                        ; =>    This Inner Loop Header: Depth=3
	v_add_nc_u32_e32 v7, v9, v10
	s_or_b32 s48, s48, exec_lo
	s_or_b32 s49, s49, exec_lo
	s_mov_b32 s50, exec_lo
	v_ashrrev_i32_e32 v8, 31, v7
	v_lshlrev_b64 v[21:22], 2, v[7:8]
	v_add_co_u32 v21, vcc_lo, s12, v21
	v_add_co_ci_u32_e64 v22, null, s13, v22, vcc_lo
	global_load_dword v2, v[21:22], off
	s_waitcnt vmcnt(0)
	v_subrev_nc_u32_e32 v2, s4, v2
	v_cmpx_ne_u32_e64 v2, v1
	s_cbranch_execz .LBB20_25
; %bb.27:                               ;   in Loop: Header=BB20_26 Depth=3
	v_add_nc_u32_e32 v10, 1, v10
	s_andn2_b32 s49, s49, exec_lo
	s_andn2_b32 s48, s48, exec_lo
	v_cmp_ge_i32_e32 vcc_lo, v10, v20
	s_and_b32 s51, vcc_lo, exec_lo
	s_or_b32 s49, s49, s51
	s_branch .LBB20_25
.LBB20_28:                              ;   in Loop: Header=BB20_8 Depth=2
	s_inst_prefetch 0x2
	s_or_b32 exec_lo, exec_lo, s46
	s_and_saveexec_b32 s46, s47
	s_xor_b32 s46, exec_lo, s46
	s_cbranch_execz .LBB20_30
; %bb.29:                               ;   in Loop: Header=BB20_8 Depth=2
	v_lshlrev_b64 v[7:8], 3, v[7:8]
	v_add_co_u32 v7, vcc_lo, s6, v7
	v_add_co_ci_u32_e64 v8, null, s7, v8, vcc_lo
	global_store_dwordx2 v[7:8], v[11:12], off
.LBB20_30:                              ;   in Loop: Header=BB20_8 Depth=2
	s_or_b32 exec_lo, exec_lo, s45
.LBB20_31:                              ;   in Loop: Header=BB20_8 Depth=2
	s_or_b32 exec_lo, exec_lo, s44
                                        ; implicit-def: $vgpr11_vgpr12
                                        ; implicit-def: $vgpr7_vgpr8
.LBB20_32:                              ;   in Loop: Header=BB20_8 Depth=2
	s_andn2_saveexec_b32 s1, s1
	s_cbranch_execz .LBB20_7
; %bb.33:                               ;   in Loop: Header=BB20_8 Depth=2
	v_cmp_lt_i32_e32 vcc_lo, v2, v15
	s_and_b32 exec_lo, exec_lo, vcc_lo
	s_cbranch_execz .LBB20_7
; %bb.34:                               ;   in Loop: Header=BB20_8 Depth=2
	s_mov_b32 s1, 0
                                        ; implicit-def: $sgpr44
                                        ; implicit-def: $sgpr46
                                        ; implicit-def: $sgpr45
	s_inst_prefetch 0x1
	s_branch .LBB20_36
	.p2align	6
.LBB20_35:                              ;   in Loop: Header=BB20_36 Depth=3
	s_or_b32 exec_lo, exec_lo, s47
	s_and_b32 s47, exec_lo, s46
	s_or_b32 s1, s47, s1
	s_andn2_b32 s44, s44, exec_lo
	s_and_b32 s47, s45, exec_lo
	s_or_b32 s44, s44, s47
	s_andn2_b32 exec_lo, exec_lo, s1
	s_cbranch_execz .LBB20_38
.LBB20_36:                              ;   Parent Loop BB20_4 Depth=1
                                        ;     Parent Loop BB20_8 Depth=2
                                        ; =>    This Inner Loop Header: Depth=3
	v_add_nc_u32_e32 v8, v6, v2
	s_or_b32 s45, s45, exec_lo
	s_or_b32 s46, s46, exec_lo
	s_mov_b32 s47, exec_lo
	v_ashrrev_i32_e32 v9, 31, v8
	v_lshlrev_b64 v[20:21], 2, v[8:9]
	v_add_co_u32 v20, vcc_lo, s20, v20
	v_add_co_ci_u32_e64 v21, null, s21, v21, vcc_lo
	global_load_dword v5, v[20:21], off
	s_waitcnt vmcnt(0)
	v_subrev_nc_u32_e32 v5, s40, v5
	v_cmpx_ne_u32_e64 v5, v7
	s_cbranch_execz .LBB20_35
; %bb.37:                               ;   in Loop: Header=BB20_36 Depth=3
	v_add_nc_u32_e32 v2, 1, v2
	s_andn2_b32 s46, s46, exec_lo
	s_andn2_b32 s45, s45, exec_lo
	v_cmp_ge_i32_e32 vcc_lo, v2, v15
	s_and_b32 s48, vcc_lo, exec_lo
	s_or_b32 s46, s46, s48
	s_branch .LBB20_35
.LBB20_38:                              ;   in Loop: Header=BB20_8 Depth=2
	s_inst_prefetch 0x2
	s_or_b32 exec_lo, exec_lo, s1
	s_and_saveexec_b32 s1, s44
	s_xor_b32 s1, exec_lo, s1
	s_cbranch_execz .LBB20_7
; %bb.39:                               ;   in Loop: Header=BB20_8 Depth=2
	v_lshlrev_b64 v[7:8], 3, v[8:9]
	v_add_co_u32 v7, vcc_lo, s2, v7
	v_add_co_ci_u32_e64 v8, null, s3, v8, vcc_lo
	global_store_dwordx2 v[7:8], v[11:12], off
	s_branch .LBB20_7
.LBB20_40:
	s_endpgm
	.section	.rodata,"a",@progbits
	.p2align	6, 0x0
	.amdhsa_kernel _ZN9rocsparseL17kernel_correctionILi1024ELi64EdiiEEvT3_T2_PKS2_S4_PKS1_PKT1_21rocsparse_index_base_S4_S4_S6_S9_PS7_SA_S4_S4_S6_S9_SB_SA_S9_SB_
		.amdhsa_group_segment_fixed_size 0
		.amdhsa_private_segment_fixed_size 0
		.amdhsa_kernarg_size 160
		.amdhsa_user_sgpr_count 6
		.amdhsa_user_sgpr_private_segment_buffer 1
		.amdhsa_user_sgpr_dispatch_ptr 0
		.amdhsa_user_sgpr_queue_ptr 0
		.amdhsa_user_sgpr_kernarg_segment_ptr 1
		.amdhsa_user_sgpr_dispatch_id 0
		.amdhsa_user_sgpr_flat_scratch_init 0
		.amdhsa_user_sgpr_private_segment_size 0
		.amdhsa_wavefront_size32 1
		.amdhsa_uses_dynamic_stack 0
		.amdhsa_system_sgpr_private_segment_wavefront_offset 0
		.amdhsa_system_sgpr_workgroup_id_x 1
		.amdhsa_system_sgpr_workgroup_id_y 0
		.amdhsa_system_sgpr_workgroup_id_z 0
		.amdhsa_system_sgpr_workgroup_info 0
		.amdhsa_system_vgpr_workitem_id 0
		.amdhsa_next_free_vgpr 31
		.amdhsa_next_free_sgpr 52
		.amdhsa_reserve_vcc 1
		.amdhsa_reserve_flat_scratch 0
		.amdhsa_float_round_mode_32 0
		.amdhsa_float_round_mode_16_64 0
		.amdhsa_float_denorm_mode_32 3
		.amdhsa_float_denorm_mode_16_64 3
		.amdhsa_dx10_clamp 1
		.amdhsa_ieee_mode 1
		.amdhsa_fp16_overflow 0
		.amdhsa_workgroup_processor_mode 1
		.amdhsa_memory_ordered 1
		.amdhsa_forward_progress 1
		.amdhsa_shared_vgpr_count 0
		.amdhsa_exception_fp_ieee_invalid_op 0
		.amdhsa_exception_fp_denorm_src 0
		.amdhsa_exception_fp_ieee_div_zero 0
		.amdhsa_exception_fp_ieee_overflow 0
		.amdhsa_exception_fp_ieee_underflow 0
		.amdhsa_exception_fp_ieee_inexact 0
		.amdhsa_exception_int_div_zero 0
	.end_amdhsa_kernel
	.section	.text._ZN9rocsparseL17kernel_correctionILi1024ELi64EdiiEEvT3_T2_PKS2_S4_PKS1_PKT1_21rocsparse_index_base_S4_S4_S6_S9_PS7_SA_S4_S4_S6_S9_SB_SA_S9_SB_,"axG",@progbits,_ZN9rocsparseL17kernel_correctionILi1024ELi64EdiiEEvT3_T2_PKS2_S4_PKS1_PKT1_21rocsparse_index_base_S4_S4_S6_S9_PS7_SA_S4_S4_S6_S9_SB_SA_S9_SB_,comdat
.Lfunc_end20:
	.size	_ZN9rocsparseL17kernel_correctionILi1024ELi64EdiiEEvT3_T2_PKS2_S4_PKS1_PKT1_21rocsparse_index_base_S4_S4_S6_S9_PS7_SA_S4_S4_S6_S9_SB_SA_S9_SB_, .Lfunc_end20-_ZN9rocsparseL17kernel_correctionILi1024ELi64EdiiEEvT3_T2_PKS2_S4_PKS1_PKT1_21rocsparse_index_base_S4_S4_S6_S9_PS7_SA_S4_S4_S6_S9_SB_SA_S9_SB_
                                        ; -- End function
	.set _ZN9rocsparseL17kernel_correctionILi1024ELi64EdiiEEvT3_T2_PKS2_S4_PKS1_PKT1_21rocsparse_index_base_S4_S4_S6_S9_PS7_SA_S4_S4_S6_S9_SB_SA_S9_SB_.num_vgpr, 31
	.set _ZN9rocsparseL17kernel_correctionILi1024ELi64EdiiEEvT3_T2_PKS2_S4_PKS1_PKT1_21rocsparse_index_base_S4_S4_S6_S9_PS7_SA_S4_S4_S6_S9_SB_SA_S9_SB_.num_agpr, 0
	.set _ZN9rocsparseL17kernel_correctionILi1024ELi64EdiiEEvT3_T2_PKS2_S4_PKS1_PKT1_21rocsparse_index_base_S4_S4_S6_S9_PS7_SA_S4_S4_S6_S9_SB_SA_S9_SB_.numbered_sgpr, 52
	.set _ZN9rocsparseL17kernel_correctionILi1024ELi64EdiiEEvT3_T2_PKS2_S4_PKS1_PKT1_21rocsparse_index_base_S4_S4_S6_S9_PS7_SA_S4_S4_S6_S9_SB_SA_S9_SB_.num_named_barrier, 0
	.set _ZN9rocsparseL17kernel_correctionILi1024ELi64EdiiEEvT3_T2_PKS2_S4_PKS1_PKT1_21rocsparse_index_base_S4_S4_S6_S9_PS7_SA_S4_S4_S6_S9_SB_SA_S9_SB_.private_seg_size, 0
	.set _ZN9rocsparseL17kernel_correctionILi1024ELi64EdiiEEvT3_T2_PKS2_S4_PKS1_PKT1_21rocsparse_index_base_S4_S4_S6_S9_PS7_SA_S4_S4_S6_S9_SB_SA_S9_SB_.uses_vcc, 1
	.set _ZN9rocsparseL17kernel_correctionILi1024ELi64EdiiEEvT3_T2_PKS2_S4_PKS1_PKT1_21rocsparse_index_base_S4_S4_S6_S9_PS7_SA_S4_S4_S6_S9_SB_SA_S9_SB_.uses_flat_scratch, 0
	.set _ZN9rocsparseL17kernel_correctionILi1024ELi64EdiiEEvT3_T2_PKS2_S4_PKS1_PKT1_21rocsparse_index_base_S4_S4_S6_S9_PS7_SA_S4_S4_S6_S9_SB_SA_S9_SB_.has_dyn_sized_stack, 0
	.set _ZN9rocsparseL17kernel_correctionILi1024ELi64EdiiEEvT3_T2_PKS2_S4_PKS1_PKT1_21rocsparse_index_base_S4_S4_S6_S9_PS7_SA_S4_S4_S6_S9_SB_SA_S9_SB_.has_recursion, 0
	.set _ZN9rocsparseL17kernel_correctionILi1024ELi64EdiiEEvT3_T2_PKS2_S4_PKS1_PKT1_21rocsparse_index_base_S4_S4_S6_S9_PS7_SA_S4_S4_S6_S9_SB_SA_S9_SB_.has_indirect_call, 0
	.section	.AMDGPU.csdata,"",@progbits
; Kernel info:
; codeLenInByte = 1728
; TotalNumSgprs: 54
; NumVgprs: 31
; ScratchSize: 0
; MemoryBound: 1
; FloatMode: 240
; IeeeMode: 1
; LDSByteSize: 0 bytes/workgroup (compile time only)
; SGPRBlocks: 0
; VGPRBlocks: 3
; NumSGPRsForWavesPerEU: 54
; NumVGPRsForWavesPerEU: 31
; Occupancy: 16
; WaveLimiterHint : 1
; COMPUTE_PGM_RSRC2:SCRATCH_EN: 0
; COMPUTE_PGM_RSRC2:USER_SGPR: 6
; COMPUTE_PGM_RSRC2:TRAP_HANDLER: 0
; COMPUTE_PGM_RSRC2:TGID_X_EN: 1
; COMPUTE_PGM_RSRC2:TGID_Y_EN: 0
; COMPUTE_PGM_RSRC2:TGID_Z_EN: 0
; COMPUTE_PGM_RSRC2:TIDIG_COMP_CNT: 0
	.section	.text._ZN9rocsparseL19kernel_nrm_residualILi1024ELi1EdiiEEvT3_T2_PKS2_S4_PKS1_PKT1_21rocsparse_index_base_S4_S4_S6_S9_SA_S4_S4_S6_S9_SA_S9_PNS_15floating_traitsIS7_E6data_tEPKSD_,"axG",@progbits,_ZN9rocsparseL19kernel_nrm_residualILi1024ELi1EdiiEEvT3_T2_PKS2_S4_PKS1_PKT1_21rocsparse_index_base_S4_S4_S6_S9_SA_S4_S4_S6_S9_SA_S9_PNS_15floating_traitsIS7_E6data_tEPKSD_,comdat
	.globl	_ZN9rocsparseL19kernel_nrm_residualILi1024ELi1EdiiEEvT3_T2_PKS2_S4_PKS1_PKT1_21rocsparse_index_base_S4_S4_S6_S9_SA_S4_S4_S6_S9_SA_S9_PNS_15floating_traitsIS7_E6data_tEPKSD_ ; -- Begin function _ZN9rocsparseL19kernel_nrm_residualILi1024ELi1EdiiEEvT3_T2_PKS2_S4_PKS1_PKT1_21rocsparse_index_base_S4_S4_S6_S9_SA_S4_S4_S6_S9_SA_S9_PNS_15floating_traitsIS7_E6data_tEPKSD_
	.p2align	8
	.type	_ZN9rocsparseL19kernel_nrm_residualILi1024ELi1EdiiEEvT3_T2_PKS2_S4_PKS1_PKT1_21rocsparse_index_base_S4_S4_S6_S9_SA_S4_S4_S6_S9_SA_S9_PNS_15floating_traitsIS7_E6data_tEPKSD_,@function
_ZN9rocsparseL19kernel_nrm_residualILi1024ELi1EdiiEEvT3_T2_PKS2_S4_PKS1_PKT1_21rocsparse_index_base_S4_S4_S6_S9_SA_S4_S4_S6_S9_SA_S9_PNS_15floating_traitsIS7_E6data_tEPKSD_: ; @_ZN9rocsparseL19kernel_nrm_residualILi1024ELi1EdiiEEvT3_T2_PKS2_S4_PKS1_PKT1_21rocsparse_index_base_S4_S4_S6_S9_SA_S4_S4_S6_S9_SA_S9_PNS_15floating_traitsIS7_E6data_tEPKSD_
; %bb.0:
	s_load_dword s7, s[4:5], 0x0
	s_lshl_b32 s34, s6, 10
	v_mov_b32_e32 v3, 0
	v_or_b32_e32 v1, s34, v0
	v_mov_b32_e32 v4, 0
	s_mov_b32 s6, exec_lo
	s_waitcnt lgkmcnt(0)
	v_cmpx_gt_i32_e64 s7, v1
	s_cbranch_execz .LBB21_40
; %bb.1:
	v_mov_b32_e32 v3, 0
	v_mov_b32_e32 v4, 0
	s_addk_i32 s34, 0x400
	s_mov_b32 s33, exec_lo
	v_cmpx_gt_u32_e64 s34, v1
	s_cbranch_execz .LBB21_39
; %bb.2:
	s_clause 0x6
	s_load_dwordx8 s[8:15], s[4:5], 0x58
	s_load_dwordx8 s[16:23], s[4:5], 0x30
	;; [unrolled: 1-line block ×3, first 2 shown]
	s_load_dword s35, s[4:5], 0x28
	s_load_dword s36, s[4:5], 0x50
	s_load_dwordx2 s[2:3], s[4:5], 0x80
	s_load_dword s37, s[4:5], 0x78
	v_mov_b32_e32 v3, 0
	v_mov_b32_e32 v4, 0
	;; [unrolled: 1-line block ×3, first 2 shown]
	s_mov_b32 s38, 0
	s_branch .LBB21_6
.LBB21_3:                               ;   in Loop: Header=BB21_6 Depth=1
	s_or_b32 exec_lo, exec_lo, s41
.LBB21_4:                               ;   in Loop: Header=BB21_6 Depth=1
	s_or_b32 exec_lo, exec_lo, s40
.LBB21_5:                               ;   in Loop: Header=BB21_6 Depth=1
	s_or_b32 exec_lo, exec_lo, s39
	v_add_nc_u32_e32 v1, 0x400, v1
	v_cmp_le_u32_e32 vcc_lo, s34, v1
	s_or_b32 s38, vcc_lo, s38
	s_andn2_b32 exec_lo, exec_lo, s38
	s_cbranch_execz .LBB21_38
.LBB21_6:                               ; =>This Loop Header: Depth=1
                                        ;     Child Loop BB21_10 Depth 2
                                        ;       Child Loop BB21_14 Depth 3
                                        ;       Child Loop BB21_24 Depth 3
	;; [unrolled: 1-line block ×3, first 2 shown]
	s_mov_b32 s39, exec_lo
	v_cmpx_gt_i32_e64 s7, v1
	s_cbranch_execz .LBB21_5
; %bb.7:                                ;   in Loop: Header=BB21_6 Depth=1
	v_ashrrev_i32_e32 v2, 31, v1
	s_mov_b32 s40, exec_lo
	v_lshlrev_b64 v[7:8], 2, v[1:2]
	s_waitcnt lgkmcnt(0)
	v_add_co_u32 v9, vcc_lo, s24, v7
	v_add_co_ci_u32_e64 v10, null, s25, v8, vcc_lo
	v_add_co_u32 v11, vcc_lo, s26, v7
	v_add_co_ci_u32_e64 v12, null, s27, v8, vcc_lo
	global_load_dword v5, v[9:10], off
	global_load_dword v2, v[11:12], off
	s_waitcnt vmcnt(0)
	v_cmpx_lt_i32_e64 v5, v2
	s_cbranch_execz .LBB21_4
; %bb.8:                                ;   in Loop: Header=BB21_6 Depth=1
	v_add_co_u32 v9, vcc_lo, s16, v7
	v_add_co_ci_u32_e64 v10, null, s17, v8, vcc_lo
	v_add_co_u32 v7, vcc_lo, s18, v7
	v_add_co_ci_u32_e64 v8, null, s19, v8, vcc_lo
	global_load_dword v12, v[9:10], off
	v_subrev_nc_u32_e32 v2, s35, v2
	v_subrev_nc_u32_e32 v9, s35, v5
	global_load_dword v13, v[7:8], off
	s_mov_b32 s41, 0
	s_waitcnt vmcnt(1)
	v_subrev_nc_u32_e32 v7, s36, v12
	s_waitcnt vmcnt(0)
	v_sub_nc_u32_e32 v19, v13, v12
	v_ashrrev_i32_e32 v8, 31, v7
	v_lshlrev_b64 v[10:11], 2, v[7:8]
	v_lshlrev_b64 v[12:13], 3, v[7:8]
	v_add_co_u32 v8, vcc_lo, s20, v10
	v_add_co_ci_u32_e64 v20, null, s21, v11, vcc_lo
	v_add_co_u32 v21, vcc_lo, s22, v12
	v_add_co_ci_u32_e64 v22, null, s23, v13, vcc_lo
	v_cmp_lt_i32_e32 vcc_lo, 0, v19
	s_branch .LBB21_10
.LBB21_9:                               ;   in Loop: Header=BB21_10 Depth=2
	s_or_b32 exec_lo, exec_lo, s1
	v_lshlrev_b64 v[10:11], 3, v[9:10]
	v_add_nc_u32_e32 v9, 1, v9
	v_add_co_u32 v10, s0, s30, v10
	v_add_co_ci_u32_e64 v11, null, s31, v11, s0
	v_cmp_ge_i32_e64 s0, v9, v2
	global_load_dwordx2 v[10:11], v[10:11], off
	s_waitcnt vmcnt(0)
	v_add_f64 v[10:11], v[10:11], -v[13:14]
	v_cmp_nlg_f64_e64 s1, 0x7ff00000, |v[10:11]|
	v_cmp_gt_f64_e64 s42, v[3:4], |v[10:11]|
	v_and_b32_e32 v5, 0x7fffffff, v11
	s_or_b32 s1, s1, s42
	s_or_b32 s41, s0, s41
	v_cndmask_b32_e64 v4, v5, v4, s1
	v_cndmask_b32_e64 v3, v10, v3, s1
	s_andn2_b32 exec_lo, exec_lo, s41
	s_cbranch_execz .LBB21_3
.LBB21_10:                              ;   Parent Loop BB21_6 Depth=1
                                        ; =>  This Loop Header: Depth=2
                                        ;       Child Loop BB21_14 Depth 3
                                        ;       Child Loop BB21_24 Depth 3
	;; [unrolled: 1-line block ×3, first 2 shown]
	v_ashrrev_i32_e32 v10, 31, v9
	v_lshlrev_b64 v[11:12], 2, v[9:10]
	v_add_co_u32 v11, s0, s28, v11
	v_add_co_ci_u32_e64 v12, null, s29, v12, s0
	global_load_dword v5, v[11:12], off
	s_waitcnt vmcnt(0)
	v_subrev_nc_u32_e32 v11, s35, v5
	v_ashrrev_i32_e32 v12, 31, v11
	v_lshlrev_b64 v[13:14], 2, v[11:12]
	v_add_co_u32 v15, s0, s8, v13
	v_add_co_ci_u32_e64 v16, null, s9, v14, s0
	v_add_co_u32 v13, s0, s10, v13
	v_add_co_ci_u32_e64 v14, null, s11, v14, s0
	global_load_dword v5, v[15:16], off
	global_load_dword v17, v[13:14], off
	v_mov_b32_e32 v16, 0
	v_mov_b32_e32 v13, 0
	;; [unrolled: 1-line block ×3, first 2 shown]
	s_waitcnt vmcnt(1)
	v_subrev_nc_u32_e32 v15, s37, v5
	s_waitcnt vmcnt(0)
	v_sub_nc_u32_e32 v23, v17, v5
	v_mov_b32_e32 v5, v16
	s_and_saveexec_b32 s42, vcc_lo
	s_cbranch_execz .LBB21_18
; %bb.11:                               ;   in Loop: Header=BB21_10 Depth=2
	v_ashrrev_i32_e32 v16, 31, v15
	v_mov_b32_e32 v13, 0
	v_mov_b32_e32 v14, 0
	;; [unrolled: 1-line block ×3, first 2 shown]
	s_mov_b32 s43, 0
	v_lshlrev_b64 v[24:25], 2, v[15:16]
	v_lshlrev_b64 v[16:17], 3, v[15:16]
                                        ; implicit-def: $sgpr44
	v_add_co_u32 v18, s0, s12, v24
	v_add_co_ci_u32_e64 v24, null, s13, v25, s0
	v_add_co_u32 v25, s0, s14, v16
	v_add_co_ci_u32_e64 v26, null, s15, v17, s0
	v_mov_b32_e32 v16, 0
	s_branch .LBB21_14
.LBB21_12:                              ;   in Loop: Header=BB21_14 Depth=3
	s_or_b32 exec_lo, exec_lo, s1
	v_cmp_le_i32_e64 s0, v27, v28
	v_cmp_ge_i32_e64 s1, v27, v28
	v_add_co_ci_u32_e64 v5, null, 0, v5, s0
	v_add_co_ci_u32_e64 v16, null, 0, v16, s1
	s_andn2_b32 s1, s44, exec_lo
	v_cmp_ge_i32_e64 s0, v5, v19
	s_and_b32 s0, s0, exec_lo
	s_or_b32 s44, s1, s0
.LBB21_13:                              ;   in Loop: Header=BB21_14 Depth=3
	s_or_b32 exec_lo, exec_lo, s45
	s_and_b32 s0, exec_lo, s44
	s_or_b32 s43, s0, s43
	s_andn2_b32 exec_lo, exec_lo, s43
	s_cbranch_execz .LBB21_17
.LBB21_14:                              ;   Parent Loop BB21_6 Depth=1
                                        ;     Parent Loop BB21_10 Depth=2
                                        ; =>    This Inner Loop Header: Depth=3
	s_or_b32 s44, s44, exec_lo
	s_mov_b32 s45, exec_lo
	v_cmpx_lt_i32_e64 v16, v23
	s_cbranch_execz .LBB21_13
; %bb.15:                               ;   in Loop: Header=BB21_14 Depth=3
	v_mov_b32_e32 v17, v6
	v_lshlrev_b64 v[27:28], 2, v[5:6]
	s_mov_b32 s1, exec_lo
	v_lshlrev_b64 v[29:30], 2, v[16:17]
	v_add_co_u32 v27, s0, v8, v27
	v_add_co_ci_u32_e64 v28, null, v20, v28, s0
	v_add_co_u32 v29, s0, v18, v29
	v_add_co_ci_u32_e64 v30, null, v24, v30, s0
	global_load_dword v27, v[27:28], off
	global_load_dword v28, v[29:30], off
	s_waitcnt vmcnt(1)
	v_subrev_nc_u32_e32 v27, s36, v27
	s_waitcnt vmcnt(0)
	v_subrev_nc_u32_e32 v28, s37, v28
	v_cmpx_eq_u32_e64 v27, v28
	s_cbranch_execz .LBB21_12
; %bb.16:                               ;   in Loop: Header=BB21_14 Depth=3
	v_lshlrev_b64 v[29:30], 3, v[5:6]
	v_lshlrev_b64 v[31:32], 3, v[16:17]
	v_add_co_u32 v29, s0, v21, v29
	v_add_co_ci_u32_e64 v30, null, v22, v30, s0
	v_add_co_u32 v31, s0, v25, v31
	v_add_co_ci_u32_e64 v32, null, v26, v32, s0
	global_load_dwordx2 v[29:30], v[29:30], off
	global_load_dwordx2 v[31:32], v[31:32], off
	s_waitcnt vmcnt(0)
	v_fma_f64 v[13:14], v[29:30], v[31:32], v[13:14]
	s_branch .LBB21_12
.LBB21_17:                              ;   in Loop: Header=BB21_10 Depth=2
	s_or_b32 exec_lo, exec_lo, s43
.LBB21_18:                              ;   in Loop: Header=BB21_10 Depth=2
	s_or_b32 exec_lo, exec_lo, s42
	s_mov_b32 s1, exec_lo
	v_cmpx_ge_i32_e64 v16, v23
	s_xor_b32 s1, exec_lo, s1
	s_cbranch_execnz .LBB21_21
; %bb.19:                               ;   in Loop: Header=BB21_10 Depth=2
	s_andn2_saveexec_b32 s1, s1
	s_cbranch_execnz .LBB21_30
.LBB21_20:                              ;   in Loop: Header=BB21_10 Depth=2
	s_or_b32 exec_lo, exec_lo, s1
	s_mov_b32 s1, exec_lo
	v_cmpx_eq_u32_e64 v1, v11
	s_cbranch_execz .LBB21_9
	s_branch .LBB21_37
.LBB21_21:                              ;   in Loop: Header=BB21_10 Depth=2
	s_mov_b32 s42, exec_lo
	v_cmpx_lt_i32_e64 v5, v19
	s_cbranch_execz .LBB21_29
; %bb.22:                               ;   in Loop: Header=BB21_10 Depth=2
	s_mov_b32 s43, 0
                                        ; implicit-def: $sgpr44
                                        ; implicit-def: $sgpr46
                                        ; implicit-def: $sgpr45
	s_inst_prefetch 0x1
	s_branch .LBB21_24
	.p2align	6
.LBB21_23:                              ;   in Loop: Header=BB21_24 Depth=3
	s_or_b32 exec_lo, exec_lo, s47
	s_and_b32 s0, exec_lo, s46
	s_or_b32 s43, s0, s43
	s_andn2_b32 s0, s44, exec_lo
	s_and_b32 s44, s45, exec_lo
	s_or_b32 s44, s0, s44
	s_andn2_b32 exec_lo, exec_lo, s43
	s_cbranch_execz .LBB21_26
.LBB21_24:                              ;   Parent Loop BB21_6 Depth=1
                                        ;     Parent Loop BB21_10 Depth=2
                                        ; =>    This Inner Loop Header: Depth=3
	v_add_nc_u32_e32 v15, v7, v5
	s_or_b32 s45, s45, exec_lo
	s_or_b32 s46, s46, exec_lo
	s_mov_b32 s47, exec_lo
	v_ashrrev_i32_e32 v16, 31, v15
	v_lshlrev_b64 v[17:18], 2, v[15:16]
	v_add_co_u32 v17, s0, s20, v17
	v_add_co_ci_u32_e64 v18, null, s21, v18, s0
	global_load_dword v17, v[17:18], off
	s_waitcnt vmcnt(0)
	v_subrev_nc_u32_e32 v17, s36, v17
	v_cmpx_ne_u32_e64 v17, v11
	s_cbranch_execz .LBB21_23
; %bb.25:                               ;   in Loop: Header=BB21_24 Depth=3
	v_add_nc_u32_e32 v5, 1, v5
	s_andn2_b32 s46, s46, exec_lo
	s_andn2_b32 s45, s45, exec_lo
	v_cmp_ge_i32_e64 s0, v5, v19
	s_and_b32 s0, s0, exec_lo
	s_or_b32 s46, s46, s0
	s_branch .LBB21_23
.LBB21_26:                              ;   in Loop: Header=BB21_10 Depth=2
	s_inst_prefetch 0x2
	s_or_b32 exec_lo, exec_lo, s43
	s_and_saveexec_b32 s0, s44
	s_xor_b32 s43, exec_lo, s0
	s_cbranch_execz .LBB21_28
; %bb.27:                               ;   in Loop: Header=BB21_10 Depth=2
	v_lshlrev_b64 v[15:16], 3, v[15:16]
	v_lshlrev_b64 v[17:18], 3, v[11:12]
	v_add_co_u32 v15, s0, s22, v15
	v_add_co_ci_u32_e64 v16, null, s23, v16, s0
	v_add_co_u32 v17, s0, s2, v17
	v_add_co_ci_u32_e64 v18, null, s3, v18, s0
	global_load_dwordx2 v[15:16], v[15:16], off
	global_load_dwordx2 v[17:18], v[17:18], off
	s_waitcnt vmcnt(0)
	v_fma_f64 v[13:14], v[15:16], v[17:18], v[13:14]
.LBB21_28:                              ;   in Loop: Header=BB21_10 Depth=2
	s_or_b32 exec_lo, exec_lo, s43
.LBB21_29:                              ;   in Loop: Header=BB21_10 Depth=2
	s_or_b32 exec_lo, exec_lo, s42
                                        ; implicit-def: $vgpr16
                                        ; implicit-def: $vgpr15
                                        ; implicit-def: $vgpr23
	s_andn2_saveexec_b32 s1, s1
	s_cbranch_execz .LBB21_20
.LBB21_30:                              ;   in Loop: Header=BB21_10 Depth=2
	s_mov_b32 s42, 0
                                        ; implicit-def: $sgpr43
                                        ; implicit-def: $sgpr45
                                        ; implicit-def: $sgpr44
	s_inst_prefetch 0x1
	s_branch .LBB21_32
	.p2align	6
.LBB21_31:                              ;   in Loop: Header=BB21_32 Depth=3
	s_or_b32 exec_lo, exec_lo, s46
	s_and_b32 s0, exec_lo, s45
	s_or_b32 s42, s0, s42
	s_andn2_b32 s0, s43, exec_lo
	s_and_b32 s43, s44, exec_lo
	s_or_b32 s43, s0, s43
	s_andn2_b32 exec_lo, exec_lo, s42
	s_cbranch_execz .LBB21_34
.LBB21_32:                              ;   Parent Loop BB21_6 Depth=1
                                        ;     Parent Loop BB21_10 Depth=2
                                        ; =>    This Inner Loop Header: Depth=3
	v_add_nc_u32_e32 v17, v15, v16
	s_or_b32 s44, s44, exec_lo
	s_or_b32 s45, s45, exec_lo
	s_mov_b32 s46, exec_lo
	v_ashrrev_i32_e32 v18, 31, v17
	v_lshlrev_b64 v[24:25], 2, v[17:18]
	v_add_co_u32 v24, s0, s12, v24
	v_add_co_ci_u32_e64 v25, null, s13, v25, s0
	global_load_dword v5, v[24:25], off
	s_waitcnt vmcnt(0)
	v_subrev_nc_u32_e32 v5, s37, v5
	v_cmpx_ne_u32_e64 v5, v1
	s_cbranch_execz .LBB21_31
; %bb.33:                               ;   in Loop: Header=BB21_32 Depth=3
	v_add_nc_u32_e32 v16, 1, v16
	s_andn2_b32 s45, s45, exec_lo
	s_andn2_b32 s44, s44, exec_lo
	v_cmp_ge_i32_e64 s0, v16, v23
	s_and_b32 s0, s0, exec_lo
	s_or_b32 s45, s45, s0
	s_branch .LBB21_31
.LBB21_34:                              ;   in Loop: Header=BB21_10 Depth=2
	s_inst_prefetch 0x2
	s_or_b32 exec_lo, exec_lo, s42
	s_and_saveexec_b32 s0, s43
	s_xor_b32 s42, exec_lo, s0
	s_cbranch_execz .LBB21_36
; %bb.35:                               ;   in Loop: Header=BB21_10 Depth=2
	v_lshlrev_b64 v[15:16], 3, v[17:18]
	v_add_co_u32 v15, s0, s14, v15
	v_add_co_ci_u32_e64 v16, null, s15, v16, s0
	global_load_dwordx2 v[15:16], v[15:16], off
	s_waitcnt vmcnt(0)
	v_add_f64 v[13:14], v[13:14], v[15:16]
.LBB21_36:                              ;   in Loop: Header=BB21_10 Depth=2
	s_or_b32 exec_lo, exec_lo, s42
	s_or_b32 exec_lo, exec_lo, s1
	s_mov_b32 s1, exec_lo
	v_cmpx_eq_u32_e64 v1, v11
	s_cbranch_execz .LBB21_9
.LBB21_37:                              ;   in Loop: Header=BB21_10 Depth=2
	v_lshlrev_b64 v[11:12], 3, v[11:12]
	v_add_co_u32 v11, s0, s2, v11
	v_add_co_ci_u32_e64 v12, null, s3, v12, s0
	global_load_dwordx2 v[11:12], v[11:12], off
	s_waitcnt vmcnt(0)
	v_add_f64 v[13:14], v[13:14], v[11:12]
	s_branch .LBB21_9
.LBB21_38:
	s_or_b32 exec_lo, exec_lo, s38
.LBB21_39:
	s_or_b32 exec_lo, exec_lo, s33
.LBB21_40:
	s_or_b32 exec_lo, exec_lo, s6
	v_lshlrev_b32_e32 v1, 3, v0
	s_mov_b32 s0, exec_lo
	ds_write_b64 v1, v[3:4]
	s_waitcnt lgkmcnt(0)
	s_barrier
	buffer_gl0_inv
	v_cmpx_gt_u32_e32 0x200, v0
	s_cbranch_execz .LBB21_42
; %bb.41:
	ds_read2st64_b64 v[2:5], v1 offset1:8
	s_waitcnt lgkmcnt(0)
	v_cmp_lt_f64_e32 vcc_lo, v[2:3], v[4:5]
	v_cndmask_b32_e32 v3, v3, v5, vcc_lo
	v_cndmask_b32_e32 v2, v2, v4, vcc_lo
	ds_write_b64 v1, v[2:3]
.LBB21_42:
	s_or_b32 exec_lo, exec_lo, s0
	s_mov_b32 s0, exec_lo
	s_waitcnt lgkmcnt(0)
	s_barrier
	buffer_gl0_inv
	v_cmpx_gt_u32_e32 0x100, v0
	s_cbranch_execz .LBB21_44
; %bb.43:
	ds_read2st64_b64 v[2:5], v1 offset1:4
	s_waitcnt lgkmcnt(0)
	v_cmp_lt_f64_e32 vcc_lo, v[2:3], v[4:5]
	v_cndmask_b32_e32 v3, v3, v5, vcc_lo
	v_cndmask_b32_e32 v2, v2, v4, vcc_lo
	ds_write_b64 v1, v[2:3]
.LBB21_44:
	s_or_b32 exec_lo, exec_lo, s0
	s_mov_b32 s0, exec_lo
	;; [unrolled: 15-line block ×4, first 2 shown]
	s_waitcnt lgkmcnt(0)
	s_barrier
	buffer_gl0_inv
	v_cmpx_gt_u32_e32 32, v0
	s_cbranch_execz .LBB21_50
; %bb.49:
	ds_read2_b64 v[2:5], v1 offset1:32
	s_waitcnt lgkmcnt(0)
	v_cmp_lt_f64_e32 vcc_lo, v[2:3], v[4:5]
	v_cndmask_b32_e32 v3, v3, v5, vcc_lo
	v_cndmask_b32_e32 v2, v2, v4, vcc_lo
	ds_write_b64 v1, v[2:3]
.LBB21_50:
	s_or_b32 exec_lo, exec_lo, s0
	s_mov_b32 s0, exec_lo
	s_waitcnt lgkmcnt(0)
	s_barrier
	buffer_gl0_inv
	v_cmpx_gt_u32_e32 16, v0
	s_cbranch_execz .LBB21_52
; %bb.51:
	ds_read2_b64 v[2:5], v1 offset1:16
	s_waitcnt lgkmcnt(0)
	v_cmp_lt_f64_e32 vcc_lo, v[2:3], v[4:5]
	v_cndmask_b32_e32 v3, v3, v5, vcc_lo
	v_cndmask_b32_e32 v2, v2, v4, vcc_lo
	ds_write_b64 v1, v[2:3]
.LBB21_52:
	s_or_b32 exec_lo, exec_lo, s0
	s_mov_b32 s0, exec_lo
	;; [unrolled: 15-line block ×4, first 2 shown]
	s_waitcnt lgkmcnt(0)
	s_barrier
	buffer_gl0_inv
	v_cmpx_gt_u32_e32 2, v0
	s_cbranch_execz .LBB21_58
; %bb.57:
	ds_read2_b64 v[2:5], v1 offset1:2
	s_waitcnt lgkmcnt(0)
	v_cmp_lt_f64_e32 vcc_lo, v[2:3], v[4:5]
	v_cndmask_b32_e32 v3, v3, v5, vcc_lo
	v_cndmask_b32_e32 v2, v2, v4, vcc_lo
	ds_write_b64 v1, v[2:3]
.LBB21_58:
	s_or_b32 exec_lo, exec_lo, s0
	v_cmp_eq_u32_e32 vcc_lo, 0, v0
	s_waitcnt lgkmcnt(0)
	s_barrier
	buffer_gl0_inv
	s_and_saveexec_b32 s1, vcc_lo
	s_cbranch_execz .LBB21_60
; %bb.59:
	v_mov_b32_e32 v4, 0
	ds_read_b128 v[0:3], v4
	s_waitcnt lgkmcnt(0)
	v_cmp_lt_f64_e64 s0, v[0:1], v[2:3]
	v_cndmask_b32_e64 v1, v1, v3, s0
	v_cndmask_b32_e64 v0, v0, v2, s0
	ds_write_b64 v4, v[0:1]
.LBB21_60:
	s_or_b32 exec_lo, exec_lo, s1
	s_waitcnt lgkmcnt(0)
	s_barrier
	buffer_gl0_inv
	s_and_saveexec_b32 s0, vcc_lo
	s_cbranch_execz .LBB21_64
; %bb.61:
	v_mbcnt_lo_u32_b32 v0, exec_lo, 0
	s_mov_b32 s6, 0
	v_cmp_eq_u32_e32 vcc_lo, 0, v0
	s_and_b32 exec_lo, exec_lo, vcc_lo
	s_cbranch_execz .LBB21_64
; %bb.62:
	s_load_dwordx4 s[0:3], s[4:5], 0x88
	v_mov_b32_e32 v6, 0
	ds_read_b64 v[0:1], v6
	s_waitcnt lgkmcnt(0)
	s_load_dwordx2 s[2:3], s[2:3], 0x0
	s_waitcnt lgkmcnt(0)
	v_div_scale_f64 v[2:3], null, s[2:3], s[2:3], v[0:1]
	v_rcp_f64_e32 v[4:5], v[2:3]
	v_fma_f64 v[7:8], -v[2:3], v[4:5], 1.0
	v_fma_f64 v[4:5], v[4:5], v[7:8], v[4:5]
	v_fma_f64 v[7:8], -v[2:3], v[4:5], 1.0
	v_fma_f64 v[4:5], v[4:5], v[7:8], v[4:5]
	v_div_scale_f64 v[7:8], vcc_lo, v[0:1], s[2:3], v[0:1]
	v_mul_f64 v[9:10], v[7:8], v[4:5]
	v_fma_f64 v[2:3], -v[2:3], v[9:10], v[7:8]
	v_div_fmas_f64 v[2:3], v[2:3], v[4:5], v[9:10]
	v_div_fixup_f64 v[0:1], v[2:3], s[2:3], v[0:1]
	s_load_dwordx2 s[2:3], s[0:1], 0x0
	s_waitcnt lgkmcnt(0)
	v_mov_b32_e32 v2, s2
	v_max_f64 v[4:5], v[0:1], v[0:1]
	v_mov_b32_e32 v3, s3
.LBB21_63:                              ; =>This Inner Loop Header: Depth=1
	v_max_f64 v[0:1], v[2:3], v[2:3]
	v_max_f64 v[0:1], v[0:1], v[4:5]
	global_atomic_cmpswap_x2 v[0:1], v6, v[0:3], s[0:1] glc
	s_waitcnt vmcnt(0)
	v_cmp_eq_u64_e32 vcc_lo, v[0:1], v[2:3]
	v_mov_b32_e32 v3, v1
	v_mov_b32_e32 v2, v0
	s_or_b32 s6, vcc_lo, s6
	s_andn2_b32 exec_lo, exec_lo, s6
	s_cbranch_execnz .LBB21_63
.LBB21_64:
	s_endpgm
	.section	.rodata,"a",@progbits
	.p2align	6, 0x0
	.amdhsa_kernel _ZN9rocsparseL19kernel_nrm_residualILi1024ELi1EdiiEEvT3_T2_PKS2_S4_PKS1_PKT1_21rocsparse_index_base_S4_S4_S6_S9_SA_S4_S4_S6_S9_SA_S9_PNS_15floating_traitsIS7_E6data_tEPKSD_
		.amdhsa_group_segment_fixed_size 8192
		.amdhsa_private_segment_fixed_size 0
		.amdhsa_kernarg_size 152
		.amdhsa_user_sgpr_count 6
		.amdhsa_user_sgpr_private_segment_buffer 1
		.amdhsa_user_sgpr_dispatch_ptr 0
		.amdhsa_user_sgpr_queue_ptr 0
		.amdhsa_user_sgpr_kernarg_segment_ptr 1
		.amdhsa_user_sgpr_dispatch_id 0
		.amdhsa_user_sgpr_flat_scratch_init 0
		.amdhsa_user_sgpr_private_segment_size 0
		.amdhsa_wavefront_size32 1
		.amdhsa_uses_dynamic_stack 0
		.amdhsa_system_sgpr_private_segment_wavefront_offset 0
		.amdhsa_system_sgpr_workgroup_id_x 1
		.amdhsa_system_sgpr_workgroup_id_y 0
		.amdhsa_system_sgpr_workgroup_id_z 0
		.amdhsa_system_sgpr_workgroup_info 0
		.amdhsa_system_vgpr_workitem_id 0
		.amdhsa_next_free_vgpr 33
		.amdhsa_next_free_sgpr 48
		.amdhsa_reserve_vcc 1
		.amdhsa_reserve_flat_scratch 0
		.amdhsa_float_round_mode_32 0
		.amdhsa_float_round_mode_16_64 0
		.amdhsa_float_denorm_mode_32 3
		.amdhsa_float_denorm_mode_16_64 3
		.amdhsa_dx10_clamp 1
		.amdhsa_ieee_mode 1
		.amdhsa_fp16_overflow 0
		.amdhsa_workgroup_processor_mode 1
		.amdhsa_memory_ordered 1
		.amdhsa_forward_progress 1
		.amdhsa_shared_vgpr_count 0
		.amdhsa_exception_fp_ieee_invalid_op 0
		.amdhsa_exception_fp_denorm_src 0
		.amdhsa_exception_fp_ieee_div_zero 0
		.amdhsa_exception_fp_ieee_overflow 0
		.amdhsa_exception_fp_ieee_underflow 0
		.amdhsa_exception_fp_ieee_inexact 0
		.amdhsa_exception_int_div_zero 0
	.end_amdhsa_kernel
	.section	.text._ZN9rocsparseL19kernel_nrm_residualILi1024ELi1EdiiEEvT3_T2_PKS2_S4_PKS1_PKT1_21rocsparse_index_base_S4_S4_S6_S9_SA_S4_S4_S6_S9_SA_S9_PNS_15floating_traitsIS7_E6data_tEPKSD_,"axG",@progbits,_ZN9rocsparseL19kernel_nrm_residualILi1024ELi1EdiiEEvT3_T2_PKS2_S4_PKS1_PKT1_21rocsparse_index_base_S4_S4_S6_S9_SA_S4_S4_S6_S9_SA_S9_PNS_15floating_traitsIS7_E6data_tEPKSD_,comdat
.Lfunc_end21:
	.size	_ZN9rocsparseL19kernel_nrm_residualILi1024ELi1EdiiEEvT3_T2_PKS2_S4_PKS1_PKT1_21rocsparse_index_base_S4_S4_S6_S9_SA_S4_S4_S6_S9_SA_S9_PNS_15floating_traitsIS7_E6data_tEPKSD_, .Lfunc_end21-_ZN9rocsparseL19kernel_nrm_residualILi1024ELi1EdiiEEvT3_T2_PKS2_S4_PKS1_PKT1_21rocsparse_index_base_S4_S4_S6_S9_SA_S4_S4_S6_S9_SA_S9_PNS_15floating_traitsIS7_E6data_tEPKSD_
                                        ; -- End function
	.set _ZN9rocsparseL19kernel_nrm_residualILi1024ELi1EdiiEEvT3_T2_PKS2_S4_PKS1_PKT1_21rocsparse_index_base_S4_S4_S6_S9_SA_S4_S4_S6_S9_SA_S9_PNS_15floating_traitsIS7_E6data_tEPKSD_.num_vgpr, 33
	.set _ZN9rocsparseL19kernel_nrm_residualILi1024ELi1EdiiEEvT3_T2_PKS2_S4_PKS1_PKT1_21rocsparse_index_base_S4_S4_S6_S9_SA_S4_S4_S6_S9_SA_S9_PNS_15floating_traitsIS7_E6data_tEPKSD_.num_agpr, 0
	.set _ZN9rocsparseL19kernel_nrm_residualILi1024ELi1EdiiEEvT3_T2_PKS2_S4_PKS1_PKT1_21rocsparse_index_base_S4_S4_S6_S9_SA_S4_S4_S6_S9_SA_S9_PNS_15floating_traitsIS7_E6data_tEPKSD_.numbered_sgpr, 48
	.set _ZN9rocsparseL19kernel_nrm_residualILi1024ELi1EdiiEEvT3_T2_PKS2_S4_PKS1_PKT1_21rocsparse_index_base_S4_S4_S6_S9_SA_S4_S4_S6_S9_SA_S9_PNS_15floating_traitsIS7_E6data_tEPKSD_.num_named_barrier, 0
	.set _ZN9rocsparseL19kernel_nrm_residualILi1024ELi1EdiiEEvT3_T2_PKS2_S4_PKS1_PKT1_21rocsparse_index_base_S4_S4_S6_S9_SA_S4_S4_S6_S9_SA_S9_PNS_15floating_traitsIS7_E6data_tEPKSD_.private_seg_size, 0
	.set _ZN9rocsparseL19kernel_nrm_residualILi1024ELi1EdiiEEvT3_T2_PKS2_S4_PKS1_PKT1_21rocsparse_index_base_S4_S4_S6_S9_SA_S4_S4_S6_S9_SA_S9_PNS_15floating_traitsIS7_E6data_tEPKSD_.uses_vcc, 1
	.set _ZN9rocsparseL19kernel_nrm_residualILi1024ELi1EdiiEEvT3_T2_PKS2_S4_PKS1_PKT1_21rocsparse_index_base_S4_S4_S6_S9_SA_S4_S4_S6_S9_SA_S9_PNS_15floating_traitsIS7_E6data_tEPKSD_.uses_flat_scratch, 0
	.set _ZN9rocsparseL19kernel_nrm_residualILi1024ELi1EdiiEEvT3_T2_PKS2_S4_PKS1_PKT1_21rocsparse_index_base_S4_S4_S6_S9_SA_S4_S4_S6_S9_SA_S9_PNS_15floating_traitsIS7_E6data_tEPKSD_.has_dyn_sized_stack, 0
	.set _ZN9rocsparseL19kernel_nrm_residualILi1024ELi1EdiiEEvT3_T2_PKS2_S4_PKS1_PKT1_21rocsparse_index_base_S4_S4_S6_S9_SA_S4_S4_S6_S9_SA_S9_PNS_15floating_traitsIS7_E6data_tEPKSD_.has_recursion, 0
	.set _ZN9rocsparseL19kernel_nrm_residualILi1024ELi1EdiiEEvT3_T2_PKS2_S4_PKS1_PKT1_21rocsparse_index_base_S4_S4_S6_S9_SA_S4_S4_S6_S9_SA_S9_PNS_15floating_traitsIS7_E6data_tEPKSD_.has_indirect_call, 0
	.section	.AMDGPU.csdata,"",@progbits
; Kernel info:
; codeLenInByte = 2688
; TotalNumSgprs: 50
; NumVgprs: 33
; ScratchSize: 0
; MemoryBound: 1
; FloatMode: 240
; IeeeMode: 1
; LDSByteSize: 8192 bytes/workgroup (compile time only)
; SGPRBlocks: 0
; VGPRBlocks: 4
; NumSGPRsForWavesPerEU: 50
; NumVGPRsForWavesPerEU: 33
; Occupancy: 16
; WaveLimiterHint : 1
; COMPUTE_PGM_RSRC2:SCRATCH_EN: 0
; COMPUTE_PGM_RSRC2:USER_SGPR: 6
; COMPUTE_PGM_RSRC2:TRAP_HANDLER: 0
; COMPUTE_PGM_RSRC2:TGID_X_EN: 1
; COMPUTE_PGM_RSRC2:TGID_Y_EN: 0
; COMPUTE_PGM_RSRC2:TGID_Z_EN: 0
; COMPUTE_PGM_RSRC2:TIDIG_COMP_CNT: 0
	.section	.text._ZN9rocsparseL19kernel_nrm_residualILi1024ELi2EdiiEEvT3_T2_PKS2_S4_PKS1_PKT1_21rocsparse_index_base_S4_S4_S6_S9_SA_S4_S4_S6_S9_SA_S9_PNS_15floating_traitsIS7_E6data_tEPKSD_,"axG",@progbits,_ZN9rocsparseL19kernel_nrm_residualILi1024ELi2EdiiEEvT3_T2_PKS2_S4_PKS1_PKT1_21rocsparse_index_base_S4_S4_S6_S9_SA_S4_S4_S6_S9_SA_S9_PNS_15floating_traitsIS7_E6data_tEPKSD_,comdat
	.globl	_ZN9rocsparseL19kernel_nrm_residualILi1024ELi2EdiiEEvT3_T2_PKS2_S4_PKS1_PKT1_21rocsparse_index_base_S4_S4_S6_S9_SA_S4_S4_S6_S9_SA_S9_PNS_15floating_traitsIS7_E6data_tEPKSD_ ; -- Begin function _ZN9rocsparseL19kernel_nrm_residualILi1024ELi2EdiiEEvT3_T2_PKS2_S4_PKS1_PKT1_21rocsparse_index_base_S4_S4_S6_S9_SA_S4_S4_S6_S9_SA_S9_PNS_15floating_traitsIS7_E6data_tEPKSD_
	.p2align	8
	.type	_ZN9rocsparseL19kernel_nrm_residualILi1024ELi2EdiiEEvT3_T2_PKS2_S4_PKS1_PKT1_21rocsparse_index_base_S4_S4_S6_S9_SA_S4_S4_S6_S9_SA_S9_PNS_15floating_traitsIS7_E6data_tEPKSD_,@function
_ZN9rocsparseL19kernel_nrm_residualILi1024ELi2EdiiEEvT3_T2_PKS2_S4_PKS1_PKT1_21rocsparse_index_base_S4_S4_S6_S9_SA_S4_S4_S6_S9_SA_S9_PNS_15floating_traitsIS7_E6data_tEPKSD_: ; @_ZN9rocsparseL19kernel_nrm_residualILi1024ELi2EdiiEEvT3_T2_PKS2_S4_PKS1_PKT1_21rocsparse_index_base_S4_S4_S6_S9_SA_S4_S4_S6_S9_SA_S9_PNS_15floating_traitsIS7_E6data_tEPKSD_
; %bb.0:
	s_load_dword s7, s[4:5], 0x0
	v_lshrrev_b32_e32 v18, 1, v0
	s_lshl_b32 s34, s6, 10
	v_mov_b32_e32 v3, 0
	v_and_b32_e32 v19, 1, v0
	v_mov_b32_e32 v4, 0
	v_or_b32_e32 v1, s34, v18
	s_mov_b32 s6, exec_lo
	s_waitcnt lgkmcnt(0)
	v_cmpx_gt_i32_e64 s7, v1
	s_cbranch_execz .LBB22_40
; %bb.1:
	v_mov_b32_e32 v3, 0
	v_mov_b32_e32 v4, 0
	s_addk_i32 s34, 0x400
	s_mov_b32 s33, exec_lo
	v_cmpx_gt_u32_e64 s34, v1
	s_cbranch_execz .LBB22_39
; %bb.2:
	s_clause 0x6
	s_load_dword s35, s[4:5], 0x28
	s_load_dwordx8 s[8:15], s[4:5], 0x58
	s_load_dwordx8 s[16:23], s[4:5], 0x30
	;; [unrolled: 1-line block ×3, first 2 shown]
	s_load_dword s36, s[4:5], 0x50
	s_load_dwordx2 s[2:3], s[4:5], 0x80
	s_load_dword s37, s[4:5], 0x78
	v_mov_b32_e32 v3, 0
	v_mov_b32_e32 v4, 0
	;; [unrolled: 1-line block ×3, first 2 shown]
	s_mov_b32 s38, 0
	s_waitcnt lgkmcnt(0)
	v_subrev_nc_u32_e32 v20, s35, v19
	s_branch .LBB22_6
.LBB22_3:                               ;   in Loop: Header=BB22_6 Depth=1
	s_or_b32 exec_lo, exec_lo, s41
.LBB22_4:                               ;   in Loop: Header=BB22_6 Depth=1
	s_or_b32 exec_lo, exec_lo, s40
.LBB22_5:                               ;   in Loop: Header=BB22_6 Depth=1
	s_or_b32 exec_lo, exec_lo, s39
	v_add_nc_u32_e32 v1, 0x200, v1
	v_cmp_le_u32_e32 vcc_lo, s34, v1
	s_or_b32 s38, vcc_lo, s38
	s_andn2_b32 exec_lo, exec_lo, s38
	s_cbranch_execz .LBB22_38
.LBB22_6:                               ; =>This Loop Header: Depth=1
                                        ;     Child Loop BB22_10 Depth 2
                                        ;       Child Loop BB22_14 Depth 3
                                        ;       Child Loop BB22_24 Depth 3
	;; [unrolled: 1-line block ×3, first 2 shown]
	s_mov_b32 s39, exec_lo
	v_cmpx_gt_i32_e64 s7, v1
	s_cbranch_execz .LBB22_5
; %bb.7:                                ;   in Loop: Header=BB22_6 Depth=1
	v_ashrrev_i32_e32 v2, 31, v1
	s_mov_b32 s40, exec_lo
	v_lshlrev_b64 v[8:9], 2, v[1:2]
	v_add_co_u32 v10, vcc_lo, s24, v8
	v_add_co_ci_u32_e64 v11, null, s25, v9, vcc_lo
	v_add_co_u32 v12, vcc_lo, s26, v8
	v_add_co_ci_u32_e64 v13, null, s27, v9, vcc_lo
	global_load_dword v2, v[10:11], off
	global_load_dword v5, v[12:13], off
	s_waitcnt vmcnt(1)
	v_add_nc_u32_e32 v7, v20, v2
	s_waitcnt vmcnt(0)
	v_subrev_nc_u32_e32 v2, s35, v5
	v_cmpx_lt_i32_e64 v7, v2
	s_cbranch_execz .LBB22_4
; %bb.8:                                ;   in Loop: Header=BB22_6 Depth=1
	v_add_co_u32 v10, vcc_lo, s16, v8
	v_add_co_ci_u32_e64 v11, null, s17, v9, vcc_lo
	v_add_co_u32 v8, vcc_lo, s18, v8
	v_add_co_ci_u32_e64 v9, null, s19, v9, vcc_lo
	global_load_dword v5, v[10:11], off
	s_mov_b32 s41, 0
	global_load_dword v8, v[8:9], off
	s_waitcnt vmcnt(1)
	v_subrev_nc_u32_e32 v9, s36, v5
	s_waitcnt vmcnt(0)
	v_sub_nc_u32_e32 v21, v8, v5
	v_ashrrev_i32_e32 v10, 31, v9
	v_lshlrev_b64 v[11:12], 2, v[9:10]
	v_lshlrev_b64 v[13:14], 3, v[9:10]
	v_add_co_u32 v22, vcc_lo, s20, v11
	v_add_co_ci_u32_e64 v23, null, s21, v12, vcc_lo
	v_add_co_u32 v24, vcc_lo, s22, v13
	v_add_co_ci_u32_e64 v25, null, s23, v14, vcc_lo
	v_cmp_lt_i32_e32 vcc_lo, 0, v21
	s_branch .LBB22_10
.LBB22_9:                               ;   in Loop: Header=BB22_10 Depth=2
	s_or_b32 exec_lo, exec_lo, s1
	v_lshlrev_b64 v[10:11], 3, v[7:8]
	v_add_nc_u32_e32 v7, 2, v7
	v_add_co_u32 v10, s0, s30, v10
	v_add_co_ci_u32_e64 v11, null, s31, v11, s0
	v_cmp_ge_i32_e64 s0, v7, v2
	global_load_dwordx2 v[10:11], v[10:11], off
	s_waitcnt vmcnt(0)
	v_add_f64 v[10:11], v[10:11], -v[12:13]
	v_cmp_nlg_f64_e64 s1, 0x7ff00000, |v[10:11]|
	v_cmp_gt_f64_e64 s42, v[3:4], |v[10:11]|
	v_and_b32_e32 v5, 0x7fffffff, v11
	s_or_b32 s1, s1, s42
	s_or_b32 s41, s0, s41
	v_cndmask_b32_e64 v4, v5, v4, s1
	v_cndmask_b32_e64 v3, v10, v3, s1
	s_andn2_b32 exec_lo, exec_lo, s41
	s_cbranch_execz .LBB22_3
.LBB22_10:                              ;   Parent Loop BB22_6 Depth=1
                                        ; =>  This Loop Header: Depth=2
                                        ;       Child Loop BB22_14 Depth 3
                                        ;       Child Loop BB22_24 Depth 3
	;; [unrolled: 1-line block ×3, first 2 shown]
	v_ashrrev_i32_e32 v8, 31, v7
	v_lshlrev_b64 v[10:11], 2, v[7:8]
	v_add_co_u32 v10, s0, s28, v10
	v_add_co_ci_u32_e64 v11, null, s29, v11, s0
	global_load_dword v5, v[10:11], off
	s_waitcnt vmcnt(0)
	v_subrev_nc_u32_e32 v10, s35, v5
	v_ashrrev_i32_e32 v11, 31, v10
	v_lshlrev_b64 v[12:13], 2, v[10:11]
	v_add_co_u32 v14, s0, s8, v12
	v_add_co_ci_u32_e64 v15, null, s9, v13, s0
	v_add_co_u32 v12, s0, s10, v12
	v_add_co_ci_u32_e64 v13, null, s11, v13, s0
	global_load_dword v5, v[14:15], off
	global_load_dword v16, v[12:13], off
	v_mov_b32_e32 v15, 0
	v_mov_b32_e32 v12, 0
	;; [unrolled: 1-line block ×3, first 2 shown]
	s_waitcnt vmcnt(1)
	v_subrev_nc_u32_e32 v14, s37, v5
	s_waitcnt vmcnt(0)
	v_sub_nc_u32_e32 v26, v16, v5
	v_mov_b32_e32 v5, v15
	s_and_saveexec_b32 s42, vcc_lo
	s_cbranch_execz .LBB22_18
; %bb.11:                               ;   in Loop: Header=BB22_10 Depth=2
	v_ashrrev_i32_e32 v15, 31, v14
	v_mov_b32_e32 v12, 0
	v_mov_b32_e32 v13, 0
	;; [unrolled: 1-line block ×3, first 2 shown]
	s_mov_b32 s43, 0
	v_lshlrev_b64 v[27:28], 2, v[14:15]
	v_lshlrev_b64 v[15:16], 3, v[14:15]
                                        ; implicit-def: $sgpr44
	v_add_co_u32 v17, s0, s12, v27
	v_add_co_ci_u32_e64 v27, null, s13, v28, s0
	v_add_co_u32 v28, s0, s14, v15
	v_add_co_ci_u32_e64 v29, null, s15, v16, s0
	v_mov_b32_e32 v15, 0
	s_branch .LBB22_14
.LBB22_12:                              ;   in Loop: Header=BB22_14 Depth=3
	s_or_b32 exec_lo, exec_lo, s1
	v_cmp_le_i32_e64 s0, v30, v31
	v_cmp_ge_i32_e64 s1, v30, v31
	v_add_co_ci_u32_e64 v5, null, 0, v5, s0
	v_add_co_ci_u32_e64 v15, null, 0, v15, s1
	s_andn2_b32 s1, s44, exec_lo
	v_cmp_ge_i32_e64 s0, v5, v21
	s_and_b32 s0, s0, exec_lo
	s_or_b32 s44, s1, s0
.LBB22_13:                              ;   in Loop: Header=BB22_14 Depth=3
	s_or_b32 exec_lo, exec_lo, s45
	s_and_b32 s0, exec_lo, s44
	s_or_b32 s43, s0, s43
	s_andn2_b32 exec_lo, exec_lo, s43
	s_cbranch_execz .LBB22_17
.LBB22_14:                              ;   Parent Loop BB22_6 Depth=1
                                        ;     Parent Loop BB22_10 Depth=2
                                        ; =>    This Inner Loop Header: Depth=3
	s_or_b32 s44, s44, exec_lo
	s_mov_b32 s45, exec_lo
	v_cmpx_lt_i32_e64 v15, v26
	s_cbranch_execz .LBB22_13
; %bb.15:                               ;   in Loop: Header=BB22_14 Depth=3
	v_mov_b32_e32 v16, v6
	v_lshlrev_b64 v[30:31], 2, v[5:6]
	s_mov_b32 s1, exec_lo
	v_lshlrev_b64 v[32:33], 2, v[15:16]
	v_add_co_u32 v30, s0, v22, v30
	v_add_co_ci_u32_e64 v31, null, v23, v31, s0
	v_add_co_u32 v32, s0, v17, v32
	v_add_co_ci_u32_e64 v33, null, v27, v33, s0
	global_load_dword v30, v[30:31], off
	global_load_dword v31, v[32:33], off
	s_waitcnt vmcnt(1)
	v_subrev_nc_u32_e32 v30, s36, v30
	s_waitcnt vmcnt(0)
	v_subrev_nc_u32_e32 v31, s37, v31
	v_cmpx_eq_u32_e64 v30, v31
	s_cbranch_execz .LBB22_12
; %bb.16:                               ;   in Loop: Header=BB22_14 Depth=3
	v_lshlrev_b64 v[32:33], 3, v[5:6]
	v_lshlrev_b64 v[34:35], 3, v[15:16]
	v_add_co_u32 v32, s0, v24, v32
	v_add_co_ci_u32_e64 v33, null, v25, v33, s0
	v_add_co_u32 v34, s0, v28, v34
	v_add_co_ci_u32_e64 v35, null, v29, v35, s0
	global_load_dwordx2 v[32:33], v[32:33], off
	global_load_dwordx2 v[34:35], v[34:35], off
	s_waitcnt vmcnt(0)
	v_fma_f64 v[12:13], v[32:33], v[34:35], v[12:13]
	s_branch .LBB22_12
.LBB22_17:                              ;   in Loop: Header=BB22_10 Depth=2
	s_or_b32 exec_lo, exec_lo, s43
.LBB22_18:                              ;   in Loop: Header=BB22_10 Depth=2
	s_or_b32 exec_lo, exec_lo, s42
	s_mov_b32 s1, exec_lo
	v_cmpx_ge_i32_e64 v15, v26
	s_xor_b32 s1, exec_lo, s1
	s_cbranch_execnz .LBB22_21
; %bb.19:                               ;   in Loop: Header=BB22_10 Depth=2
	s_andn2_saveexec_b32 s1, s1
	s_cbranch_execnz .LBB22_30
.LBB22_20:                              ;   in Loop: Header=BB22_10 Depth=2
	s_or_b32 exec_lo, exec_lo, s1
	s_mov_b32 s1, exec_lo
	v_cmpx_eq_u32_e64 v1, v10
	s_cbranch_execz .LBB22_9
	s_branch .LBB22_37
.LBB22_21:                              ;   in Loop: Header=BB22_10 Depth=2
	s_mov_b32 s42, exec_lo
	v_cmpx_lt_i32_e64 v5, v21
	s_cbranch_execz .LBB22_29
; %bb.22:                               ;   in Loop: Header=BB22_10 Depth=2
	s_mov_b32 s43, 0
                                        ; implicit-def: $sgpr44
                                        ; implicit-def: $sgpr46
                                        ; implicit-def: $sgpr45
	s_inst_prefetch 0x1
	s_branch .LBB22_24
	.p2align	6
.LBB22_23:                              ;   in Loop: Header=BB22_24 Depth=3
	s_or_b32 exec_lo, exec_lo, s47
	s_and_b32 s0, exec_lo, s46
	s_or_b32 s43, s0, s43
	s_andn2_b32 s0, s44, exec_lo
	s_and_b32 s44, s45, exec_lo
	s_or_b32 s44, s0, s44
	s_andn2_b32 exec_lo, exec_lo, s43
	s_cbranch_execz .LBB22_26
.LBB22_24:                              ;   Parent Loop BB22_6 Depth=1
                                        ;     Parent Loop BB22_10 Depth=2
                                        ; =>    This Inner Loop Header: Depth=3
	v_add_nc_u32_e32 v14, v9, v5
	s_or_b32 s45, s45, exec_lo
	s_or_b32 s46, s46, exec_lo
	s_mov_b32 s47, exec_lo
	v_ashrrev_i32_e32 v15, 31, v14
	v_lshlrev_b64 v[16:17], 2, v[14:15]
	v_add_co_u32 v16, s0, s20, v16
	v_add_co_ci_u32_e64 v17, null, s21, v17, s0
	global_load_dword v16, v[16:17], off
	s_waitcnt vmcnt(0)
	v_subrev_nc_u32_e32 v16, s36, v16
	v_cmpx_ne_u32_e64 v16, v10
	s_cbranch_execz .LBB22_23
; %bb.25:                               ;   in Loop: Header=BB22_24 Depth=3
	v_add_nc_u32_e32 v5, 1, v5
	s_andn2_b32 s46, s46, exec_lo
	s_andn2_b32 s45, s45, exec_lo
	v_cmp_ge_i32_e64 s0, v5, v21
	s_and_b32 s0, s0, exec_lo
	s_or_b32 s46, s46, s0
	s_branch .LBB22_23
.LBB22_26:                              ;   in Loop: Header=BB22_10 Depth=2
	s_inst_prefetch 0x2
	s_or_b32 exec_lo, exec_lo, s43
	s_and_saveexec_b32 s0, s44
	s_xor_b32 s43, exec_lo, s0
	s_cbranch_execz .LBB22_28
; %bb.27:                               ;   in Loop: Header=BB22_10 Depth=2
	v_lshlrev_b64 v[14:15], 3, v[14:15]
	v_lshlrev_b64 v[16:17], 3, v[10:11]
	v_add_co_u32 v14, s0, s22, v14
	v_add_co_ci_u32_e64 v15, null, s23, v15, s0
	v_add_co_u32 v16, s0, s2, v16
	v_add_co_ci_u32_e64 v17, null, s3, v17, s0
	global_load_dwordx2 v[14:15], v[14:15], off
	global_load_dwordx2 v[16:17], v[16:17], off
	s_waitcnt vmcnt(0)
	v_fma_f64 v[12:13], v[14:15], v[16:17], v[12:13]
.LBB22_28:                              ;   in Loop: Header=BB22_10 Depth=2
	s_or_b32 exec_lo, exec_lo, s43
.LBB22_29:                              ;   in Loop: Header=BB22_10 Depth=2
	s_or_b32 exec_lo, exec_lo, s42
                                        ; implicit-def: $vgpr15
                                        ; implicit-def: $vgpr14
                                        ; implicit-def: $vgpr26
	s_andn2_saveexec_b32 s1, s1
	s_cbranch_execz .LBB22_20
.LBB22_30:                              ;   in Loop: Header=BB22_10 Depth=2
	s_mov_b32 s42, 0
                                        ; implicit-def: $sgpr43
                                        ; implicit-def: $sgpr45
                                        ; implicit-def: $sgpr44
	s_inst_prefetch 0x1
	s_branch .LBB22_32
	.p2align	6
.LBB22_31:                              ;   in Loop: Header=BB22_32 Depth=3
	s_or_b32 exec_lo, exec_lo, s46
	s_and_b32 s0, exec_lo, s45
	s_or_b32 s42, s0, s42
	s_andn2_b32 s0, s43, exec_lo
	s_and_b32 s43, s44, exec_lo
	s_or_b32 s43, s0, s43
	s_andn2_b32 exec_lo, exec_lo, s42
	s_cbranch_execz .LBB22_34
.LBB22_32:                              ;   Parent Loop BB22_6 Depth=1
                                        ;     Parent Loop BB22_10 Depth=2
                                        ; =>    This Inner Loop Header: Depth=3
	v_add_nc_u32_e32 v16, v14, v15
	s_or_b32 s44, s44, exec_lo
	s_or_b32 s45, s45, exec_lo
	s_mov_b32 s46, exec_lo
	v_ashrrev_i32_e32 v17, 31, v16
	v_lshlrev_b64 v[27:28], 2, v[16:17]
	v_add_co_u32 v27, s0, s12, v27
	v_add_co_ci_u32_e64 v28, null, s13, v28, s0
	global_load_dword v5, v[27:28], off
	s_waitcnt vmcnt(0)
	v_subrev_nc_u32_e32 v5, s37, v5
	v_cmpx_ne_u32_e64 v5, v1
	s_cbranch_execz .LBB22_31
; %bb.33:                               ;   in Loop: Header=BB22_32 Depth=3
	v_add_nc_u32_e32 v15, 1, v15
	s_andn2_b32 s45, s45, exec_lo
	s_andn2_b32 s44, s44, exec_lo
	v_cmp_ge_i32_e64 s0, v15, v26
	s_and_b32 s0, s0, exec_lo
	s_or_b32 s45, s45, s0
	s_branch .LBB22_31
.LBB22_34:                              ;   in Loop: Header=BB22_10 Depth=2
	s_inst_prefetch 0x2
	s_or_b32 exec_lo, exec_lo, s42
	s_and_saveexec_b32 s0, s43
	s_xor_b32 s42, exec_lo, s0
	s_cbranch_execz .LBB22_36
; %bb.35:                               ;   in Loop: Header=BB22_10 Depth=2
	v_lshlrev_b64 v[14:15], 3, v[16:17]
	v_add_co_u32 v14, s0, s14, v14
	v_add_co_ci_u32_e64 v15, null, s15, v15, s0
	global_load_dwordx2 v[14:15], v[14:15], off
	s_waitcnt vmcnt(0)
	v_add_f64 v[12:13], v[12:13], v[14:15]
.LBB22_36:                              ;   in Loop: Header=BB22_10 Depth=2
	s_or_b32 exec_lo, exec_lo, s42
	s_or_b32 exec_lo, exec_lo, s1
	s_mov_b32 s1, exec_lo
	v_cmpx_eq_u32_e64 v1, v10
	s_cbranch_execz .LBB22_9
.LBB22_37:                              ;   in Loop: Header=BB22_10 Depth=2
	v_lshlrev_b64 v[10:11], 3, v[10:11]
	v_add_co_u32 v10, s0, s2, v10
	v_add_co_ci_u32_e64 v11, null, s3, v11, s0
	global_load_dwordx2 v[10:11], v[10:11], off
	s_waitcnt vmcnt(0)
	v_add_f64 v[12:13], v[12:13], v[10:11]
	s_branch .LBB22_9
.LBB22_38:
	s_or_b32 exec_lo, exec_lo, s38
.LBB22_39:
	s_or_b32 exec_lo, exec_lo, s33
.LBB22_40:
	s_or_b32 exec_lo, exec_lo, s6
	v_mbcnt_lo_u32_b32 v1, -1, 0
	s_mov_b32 s0, exec_lo
	v_xor_b32_e32 v2, 1, v1
	v_cmp_gt_i32_e32 vcc_lo, 32, v2
	v_cndmask_b32_e32 v1, v1, v2, vcc_lo
	v_lshlrev_b32_e32 v2, 2, v1
	ds_bpermute_b32 v1, v2, v3
	ds_bpermute_b32 v5, v2, v4
	v_cmpx_ne_u32_e32 0, v19
	s_cbranch_execz .LBB22_42
; %bb.41:
	s_waitcnt lgkmcnt(0)
	v_mov_b32_e32 v2, v5
	v_lshlrev_b32_e32 v6, 3, v18
	v_cmp_lt_f64_e32 vcc_lo, v[3:4], v[1:2]
	v_cndmask_b32_e32 v2, v4, v5, vcc_lo
	v_cndmask_b32_e32 v1, v3, v1, vcc_lo
	ds_write_b64 v6, v[1:2]
.LBB22_42:
	s_or_b32 exec_lo, exec_lo, s0
	s_waitcnt lgkmcnt(1)
	v_lshlrev_b32_e32 v1, 3, v0
	s_mov_b32 s0, exec_lo
	s_waitcnt lgkmcnt(0)
	s_barrier
	buffer_gl0_inv
	v_cmpx_gt_u32_e32 0x100, v0
	s_cbranch_execz .LBB22_44
; %bb.43:
	ds_read2st64_b64 v[2:5], v1 offset1:4
	s_waitcnt lgkmcnt(0)
	v_cmp_lt_f64_e32 vcc_lo, v[2:3], v[4:5]
	v_cndmask_b32_e32 v3, v3, v5, vcc_lo
	v_cndmask_b32_e32 v2, v2, v4, vcc_lo
	ds_write_b64 v1, v[2:3]
.LBB22_44:
	s_or_b32 exec_lo, exec_lo, s0
	s_mov_b32 s0, exec_lo
	s_waitcnt lgkmcnt(0)
	s_barrier
	buffer_gl0_inv
	v_cmpx_gt_u32_e32 0x80, v0
	s_cbranch_execz .LBB22_46
; %bb.45:
	ds_read2st64_b64 v[2:5], v1 offset1:2
	s_waitcnt lgkmcnt(0)
	v_cmp_lt_f64_e32 vcc_lo, v[2:3], v[4:5]
	v_cndmask_b32_e32 v3, v3, v5, vcc_lo
	v_cndmask_b32_e32 v2, v2, v4, vcc_lo
	ds_write_b64 v1, v[2:3]
.LBB22_46:
	s_or_b32 exec_lo, exec_lo, s0
	;; [unrolled: 15-line block ×3, first 2 shown]
	s_mov_b32 s0, exec_lo
	s_waitcnt lgkmcnt(0)
	s_barrier
	buffer_gl0_inv
	v_cmpx_gt_u32_e32 32, v0
	s_cbranch_execz .LBB22_50
; %bb.49:
	ds_read2_b64 v[2:5], v1 offset1:32
	s_waitcnt lgkmcnt(0)
	v_cmp_lt_f64_e32 vcc_lo, v[2:3], v[4:5]
	v_cndmask_b32_e32 v3, v3, v5, vcc_lo
	v_cndmask_b32_e32 v2, v2, v4, vcc_lo
	ds_write_b64 v1, v[2:3]
.LBB22_50:
	s_or_b32 exec_lo, exec_lo, s0
	s_mov_b32 s0, exec_lo
	s_waitcnt lgkmcnt(0)
	s_barrier
	buffer_gl0_inv
	v_cmpx_gt_u32_e32 16, v0
	s_cbranch_execz .LBB22_52
; %bb.51:
	ds_read2_b64 v[2:5], v1 offset1:16
	s_waitcnt lgkmcnt(0)
	v_cmp_lt_f64_e32 vcc_lo, v[2:3], v[4:5]
	v_cndmask_b32_e32 v3, v3, v5, vcc_lo
	v_cndmask_b32_e32 v2, v2, v4, vcc_lo
	ds_write_b64 v1, v[2:3]
.LBB22_52:
	s_or_b32 exec_lo, exec_lo, s0
	s_mov_b32 s0, exec_lo
	s_waitcnt lgkmcnt(0)
	s_barrier
	buffer_gl0_inv
	v_cmpx_gt_u32_e32 8, v0
	s_cbranch_execz .LBB22_54
; %bb.53:
	ds_read2_b64 v[2:5], v1 offset1:8
	s_waitcnt lgkmcnt(0)
	v_cmp_lt_f64_e32 vcc_lo, v[2:3], v[4:5]
	v_cndmask_b32_e32 v3, v3, v5, vcc_lo
	v_cndmask_b32_e32 v2, v2, v4, vcc_lo
	ds_write_b64 v1, v[2:3]
.LBB22_54:
	s_or_b32 exec_lo, exec_lo, s0
	s_mov_b32 s0, exec_lo
	s_waitcnt lgkmcnt(0)
	s_barrier
	buffer_gl0_inv
	v_cmpx_gt_u32_e32 4, v0
	s_cbranch_execz .LBB22_56
; %bb.55:
	ds_read2_b64 v[2:5], v1 offset1:4
	s_waitcnt lgkmcnt(0)
	v_cmp_lt_f64_e32 vcc_lo, v[2:3], v[4:5]
	v_cndmask_b32_e32 v3, v3, v5, vcc_lo
	v_cndmask_b32_e32 v2, v2, v4, vcc_lo
	ds_write_b64 v1, v[2:3]
.LBB22_56:
	s_or_b32 exec_lo, exec_lo, s0
	s_mov_b32 s0, exec_lo
	s_waitcnt lgkmcnt(0)
	s_barrier
	buffer_gl0_inv
	v_cmpx_gt_u32_e32 2, v0
	s_cbranch_execz .LBB22_58
; %bb.57:
	ds_read2_b64 v[2:5], v1 offset1:2
	s_waitcnt lgkmcnt(0)
	v_cmp_lt_f64_e32 vcc_lo, v[2:3], v[4:5]
	v_cndmask_b32_e32 v3, v3, v5, vcc_lo
	v_cndmask_b32_e32 v2, v2, v4, vcc_lo
	ds_write_b64 v1, v[2:3]
.LBB22_58:
	s_or_b32 exec_lo, exec_lo, s0
	v_cmp_eq_u32_e32 vcc_lo, 0, v0
	s_waitcnt lgkmcnt(0)
	s_barrier
	buffer_gl0_inv
	s_and_saveexec_b32 s1, vcc_lo
	s_cbranch_execz .LBB22_60
; %bb.59:
	v_mov_b32_e32 v4, 0
	ds_read_b128 v[0:3], v4
	s_waitcnt lgkmcnt(0)
	v_cmp_lt_f64_e64 s0, v[0:1], v[2:3]
	v_cndmask_b32_e64 v1, v1, v3, s0
	v_cndmask_b32_e64 v0, v0, v2, s0
	ds_write_b64 v4, v[0:1]
.LBB22_60:
	s_or_b32 exec_lo, exec_lo, s1
	s_waitcnt lgkmcnt(0)
	s_barrier
	buffer_gl0_inv
	s_and_saveexec_b32 s0, vcc_lo
	s_cbranch_execz .LBB22_64
; %bb.61:
	v_mbcnt_lo_u32_b32 v0, exec_lo, 0
	s_mov_b32 s6, 0
	v_cmp_eq_u32_e32 vcc_lo, 0, v0
	s_and_b32 exec_lo, exec_lo, vcc_lo
	s_cbranch_execz .LBB22_64
; %bb.62:
	s_load_dwordx4 s[0:3], s[4:5], 0x88
	v_mov_b32_e32 v6, 0
	ds_read_b64 v[0:1], v6
	s_waitcnt lgkmcnt(0)
	s_load_dwordx2 s[2:3], s[2:3], 0x0
	s_waitcnt lgkmcnt(0)
	v_div_scale_f64 v[2:3], null, s[2:3], s[2:3], v[0:1]
	v_rcp_f64_e32 v[4:5], v[2:3]
	v_fma_f64 v[7:8], -v[2:3], v[4:5], 1.0
	v_fma_f64 v[4:5], v[4:5], v[7:8], v[4:5]
	v_fma_f64 v[7:8], -v[2:3], v[4:5], 1.0
	v_fma_f64 v[4:5], v[4:5], v[7:8], v[4:5]
	v_div_scale_f64 v[7:8], vcc_lo, v[0:1], s[2:3], v[0:1]
	v_mul_f64 v[9:10], v[7:8], v[4:5]
	v_fma_f64 v[2:3], -v[2:3], v[9:10], v[7:8]
	v_div_fmas_f64 v[2:3], v[2:3], v[4:5], v[9:10]
	v_div_fixup_f64 v[0:1], v[2:3], s[2:3], v[0:1]
	s_load_dwordx2 s[2:3], s[0:1], 0x0
	s_waitcnt lgkmcnt(0)
	v_mov_b32_e32 v2, s2
	v_max_f64 v[4:5], v[0:1], v[0:1]
	v_mov_b32_e32 v3, s3
.LBB22_63:                              ; =>This Inner Loop Header: Depth=1
	v_max_f64 v[0:1], v[2:3], v[2:3]
	v_max_f64 v[0:1], v[0:1], v[4:5]
	global_atomic_cmpswap_x2 v[0:1], v6, v[0:3], s[0:1] glc
	s_waitcnt vmcnt(0)
	v_cmp_eq_u64_e32 vcc_lo, v[0:1], v[2:3]
	v_mov_b32_e32 v3, v1
	v_mov_b32_e32 v2, v0
	s_or_b32 s6, vcc_lo, s6
	s_andn2_b32 exec_lo, exec_lo, s6
	s_cbranch_execnz .LBB22_63
.LBB22_64:
	s_endpgm
	.section	.rodata,"a",@progbits
	.p2align	6, 0x0
	.amdhsa_kernel _ZN9rocsparseL19kernel_nrm_residualILi1024ELi2EdiiEEvT3_T2_PKS2_S4_PKS1_PKT1_21rocsparse_index_base_S4_S4_S6_S9_SA_S4_S4_S6_S9_SA_S9_PNS_15floating_traitsIS7_E6data_tEPKSD_
		.amdhsa_group_segment_fixed_size 4096
		.amdhsa_private_segment_fixed_size 0
		.amdhsa_kernarg_size 152
		.amdhsa_user_sgpr_count 6
		.amdhsa_user_sgpr_private_segment_buffer 1
		.amdhsa_user_sgpr_dispatch_ptr 0
		.amdhsa_user_sgpr_queue_ptr 0
		.amdhsa_user_sgpr_kernarg_segment_ptr 1
		.amdhsa_user_sgpr_dispatch_id 0
		.amdhsa_user_sgpr_flat_scratch_init 0
		.amdhsa_user_sgpr_private_segment_size 0
		.amdhsa_wavefront_size32 1
		.amdhsa_uses_dynamic_stack 0
		.amdhsa_system_sgpr_private_segment_wavefront_offset 0
		.amdhsa_system_sgpr_workgroup_id_x 1
		.amdhsa_system_sgpr_workgroup_id_y 0
		.amdhsa_system_sgpr_workgroup_id_z 0
		.amdhsa_system_sgpr_workgroup_info 0
		.amdhsa_system_vgpr_workitem_id 0
		.amdhsa_next_free_vgpr 36
		.amdhsa_next_free_sgpr 48
		.amdhsa_reserve_vcc 1
		.amdhsa_reserve_flat_scratch 0
		.amdhsa_float_round_mode_32 0
		.amdhsa_float_round_mode_16_64 0
		.amdhsa_float_denorm_mode_32 3
		.amdhsa_float_denorm_mode_16_64 3
		.amdhsa_dx10_clamp 1
		.amdhsa_ieee_mode 1
		.amdhsa_fp16_overflow 0
		.amdhsa_workgroup_processor_mode 1
		.amdhsa_memory_ordered 1
		.amdhsa_forward_progress 1
		.amdhsa_shared_vgpr_count 0
		.amdhsa_exception_fp_ieee_invalid_op 0
		.amdhsa_exception_fp_denorm_src 0
		.amdhsa_exception_fp_ieee_div_zero 0
		.amdhsa_exception_fp_ieee_overflow 0
		.amdhsa_exception_fp_ieee_underflow 0
		.amdhsa_exception_fp_ieee_inexact 0
		.amdhsa_exception_int_div_zero 0
	.end_amdhsa_kernel
	.section	.text._ZN9rocsparseL19kernel_nrm_residualILi1024ELi2EdiiEEvT3_T2_PKS2_S4_PKS1_PKT1_21rocsparse_index_base_S4_S4_S6_S9_SA_S4_S4_S6_S9_SA_S9_PNS_15floating_traitsIS7_E6data_tEPKSD_,"axG",@progbits,_ZN9rocsparseL19kernel_nrm_residualILi1024ELi2EdiiEEvT3_T2_PKS2_S4_PKS1_PKT1_21rocsparse_index_base_S4_S4_S6_S9_SA_S4_S4_S6_S9_SA_S9_PNS_15floating_traitsIS7_E6data_tEPKSD_,comdat
.Lfunc_end22:
	.size	_ZN9rocsparseL19kernel_nrm_residualILi1024ELi2EdiiEEvT3_T2_PKS2_S4_PKS1_PKT1_21rocsparse_index_base_S4_S4_S6_S9_SA_S4_S4_S6_S9_SA_S9_PNS_15floating_traitsIS7_E6data_tEPKSD_, .Lfunc_end22-_ZN9rocsparseL19kernel_nrm_residualILi1024ELi2EdiiEEvT3_T2_PKS2_S4_PKS1_PKT1_21rocsparse_index_base_S4_S4_S6_S9_SA_S4_S4_S6_S9_SA_S9_PNS_15floating_traitsIS7_E6data_tEPKSD_
                                        ; -- End function
	.set _ZN9rocsparseL19kernel_nrm_residualILi1024ELi2EdiiEEvT3_T2_PKS2_S4_PKS1_PKT1_21rocsparse_index_base_S4_S4_S6_S9_SA_S4_S4_S6_S9_SA_S9_PNS_15floating_traitsIS7_E6data_tEPKSD_.num_vgpr, 36
	.set _ZN9rocsparseL19kernel_nrm_residualILi1024ELi2EdiiEEvT3_T2_PKS2_S4_PKS1_PKT1_21rocsparse_index_base_S4_S4_S6_S9_SA_S4_S4_S6_S9_SA_S9_PNS_15floating_traitsIS7_E6data_tEPKSD_.num_agpr, 0
	.set _ZN9rocsparseL19kernel_nrm_residualILi1024ELi2EdiiEEvT3_T2_PKS2_S4_PKS1_PKT1_21rocsparse_index_base_S4_S4_S6_S9_SA_S4_S4_S6_S9_SA_S9_PNS_15floating_traitsIS7_E6data_tEPKSD_.numbered_sgpr, 48
	.set _ZN9rocsparseL19kernel_nrm_residualILi1024ELi2EdiiEEvT3_T2_PKS2_S4_PKS1_PKT1_21rocsparse_index_base_S4_S4_S6_S9_SA_S4_S4_S6_S9_SA_S9_PNS_15floating_traitsIS7_E6data_tEPKSD_.num_named_barrier, 0
	.set _ZN9rocsparseL19kernel_nrm_residualILi1024ELi2EdiiEEvT3_T2_PKS2_S4_PKS1_PKT1_21rocsparse_index_base_S4_S4_S6_S9_SA_S4_S4_S6_S9_SA_S9_PNS_15floating_traitsIS7_E6data_tEPKSD_.private_seg_size, 0
	.set _ZN9rocsparseL19kernel_nrm_residualILi1024ELi2EdiiEEvT3_T2_PKS2_S4_PKS1_PKT1_21rocsparse_index_base_S4_S4_S6_S9_SA_S4_S4_S6_S9_SA_S9_PNS_15floating_traitsIS7_E6data_tEPKSD_.uses_vcc, 1
	.set _ZN9rocsparseL19kernel_nrm_residualILi1024ELi2EdiiEEvT3_T2_PKS2_S4_PKS1_PKT1_21rocsparse_index_base_S4_S4_S6_S9_SA_S4_S4_S6_S9_SA_S9_PNS_15floating_traitsIS7_E6data_tEPKSD_.uses_flat_scratch, 0
	.set _ZN9rocsparseL19kernel_nrm_residualILi1024ELi2EdiiEEvT3_T2_PKS2_S4_PKS1_PKT1_21rocsparse_index_base_S4_S4_S6_S9_SA_S4_S4_S6_S9_SA_S9_PNS_15floating_traitsIS7_E6data_tEPKSD_.has_dyn_sized_stack, 0
	.set _ZN9rocsparseL19kernel_nrm_residualILi1024ELi2EdiiEEvT3_T2_PKS2_S4_PKS1_PKT1_21rocsparse_index_base_S4_S4_S6_S9_SA_S4_S4_S6_S9_SA_S9_PNS_15floating_traitsIS7_E6data_tEPKSD_.has_recursion, 0
	.set _ZN9rocsparseL19kernel_nrm_residualILi1024ELi2EdiiEEvT3_T2_PKS2_S4_PKS1_PKT1_21rocsparse_index_base_S4_S4_S6_S9_SA_S4_S4_S6_S9_SA_S9_PNS_15floating_traitsIS7_E6data_tEPKSD_.has_indirect_call, 0
	.section	.AMDGPU.csdata,"",@progbits
; Kernel info:
; codeLenInByte = 2704
; TotalNumSgprs: 50
; NumVgprs: 36
; ScratchSize: 0
; MemoryBound: 1
; FloatMode: 240
; IeeeMode: 1
; LDSByteSize: 4096 bytes/workgroup (compile time only)
; SGPRBlocks: 0
; VGPRBlocks: 4
; NumSGPRsForWavesPerEU: 50
; NumVGPRsForWavesPerEU: 36
; Occupancy: 16
; WaveLimiterHint : 1
; COMPUTE_PGM_RSRC2:SCRATCH_EN: 0
; COMPUTE_PGM_RSRC2:USER_SGPR: 6
; COMPUTE_PGM_RSRC2:TRAP_HANDLER: 0
; COMPUTE_PGM_RSRC2:TGID_X_EN: 1
; COMPUTE_PGM_RSRC2:TGID_Y_EN: 0
; COMPUTE_PGM_RSRC2:TGID_Z_EN: 0
; COMPUTE_PGM_RSRC2:TIDIG_COMP_CNT: 0
	.section	.text._ZN9rocsparseL19kernel_nrm_residualILi1024ELi4EdiiEEvT3_T2_PKS2_S4_PKS1_PKT1_21rocsparse_index_base_S4_S4_S6_S9_SA_S4_S4_S6_S9_SA_S9_PNS_15floating_traitsIS7_E6data_tEPKSD_,"axG",@progbits,_ZN9rocsparseL19kernel_nrm_residualILi1024ELi4EdiiEEvT3_T2_PKS2_S4_PKS1_PKT1_21rocsparse_index_base_S4_S4_S6_S9_SA_S4_S4_S6_S9_SA_S9_PNS_15floating_traitsIS7_E6data_tEPKSD_,comdat
	.globl	_ZN9rocsparseL19kernel_nrm_residualILi1024ELi4EdiiEEvT3_T2_PKS2_S4_PKS1_PKT1_21rocsparse_index_base_S4_S4_S6_S9_SA_S4_S4_S6_S9_SA_S9_PNS_15floating_traitsIS7_E6data_tEPKSD_ ; -- Begin function _ZN9rocsparseL19kernel_nrm_residualILi1024ELi4EdiiEEvT3_T2_PKS2_S4_PKS1_PKT1_21rocsparse_index_base_S4_S4_S6_S9_SA_S4_S4_S6_S9_SA_S9_PNS_15floating_traitsIS7_E6data_tEPKSD_
	.p2align	8
	.type	_ZN9rocsparseL19kernel_nrm_residualILi1024ELi4EdiiEEvT3_T2_PKS2_S4_PKS1_PKT1_21rocsparse_index_base_S4_S4_S6_S9_SA_S4_S4_S6_S9_SA_S9_PNS_15floating_traitsIS7_E6data_tEPKSD_,@function
_ZN9rocsparseL19kernel_nrm_residualILi1024ELi4EdiiEEvT3_T2_PKS2_S4_PKS1_PKT1_21rocsparse_index_base_S4_S4_S6_S9_SA_S4_S4_S6_S9_SA_S9_PNS_15floating_traitsIS7_E6data_tEPKSD_: ; @_ZN9rocsparseL19kernel_nrm_residualILi1024ELi4EdiiEEvT3_T2_PKS2_S4_PKS1_PKT1_21rocsparse_index_base_S4_S4_S6_S9_SA_S4_S4_S6_S9_SA_S9_PNS_15floating_traitsIS7_E6data_tEPKSD_
; %bb.0:
	s_load_dword s7, s[4:5], 0x0
	v_lshrrev_b32_e32 v18, 2, v0
	s_lshl_b32 s34, s6, 10
	v_mov_b32_e32 v3, 0
	v_and_b32_e32 v19, 3, v0
	v_mov_b32_e32 v4, 0
	v_or_b32_e32 v1, s34, v18
	s_mov_b32 s6, exec_lo
	s_waitcnt lgkmcnt(0)
	v_cmpx_gt_i32_e64 s7, v1
	s_cbranch_execz .LBB23_40
; %bb.1:
	v_mov_b32_e32 v3, 0
	v_mov_b32_e32 v4, 0
	s_addk_i32 s34, 0x400
	s_mov_b32 s33, exec_lo
	v_cmpx_gt_u32_e64 s34, v1
	s_cbranch_execz .LBB23_39
; %bb.2:
	s_clause 0x6
	s_load_dword s35, s[4:5], 0x28
	s_load_dwordx8 s[8:15], s[4:5], 0x58
	s_load_dwordx8 s[16:23], s[4:5], 0x30
	s_load_dwordx8 s[24:31], s[4:5], 0x8
	s_load_dword s36, s[4:5], 0x50
	s_load_dwordx2 s[2:3], s[4:5], 0x80
	s_load_dword s37, s[4:5], 0x78
	v_mov_b32_e32 v3, 0
	v_mov_b32_e32 v4, 0
	;; [unrolled: 1-line block ×3, first 2 shown]
	s_mov_b32 s38, 0
	s_waitcnt lgkmcnt(0)
	v_subrev_nc_u32_e32 v20, s35, v19
	s_branch .LBB23_6
.LBB23_3:                               ;   in Loop: Header=BB23_6 Depth=1
	s_or_b32 exec_lo, exec_lo, s41
.LBB23_4:                               ;   in Loop: Header=BB23_6 Depth=1
	s_or_b32 exec_lo, exec_lo, s40
.LBB23_5:                               ;   in Loop: Header=BB23_6 Depth=1
	s_or_b32 exec_lo, exec_lo, s39
	v_add_nc_u32_e32 v1, 0x100, v1
	v_cmp_le_u32_e32 vcc_lo, s34, v1
	s_or_b32 s38, vcc_lo, s38
	s_andn2_b32 exec_lo, exec_lo, s38
	s_cbranch_execz .LBB23_38
.LBB23_6:                               ; =>This Loop Header: Depth=1
                                        ;     Child Loop BB23_10 Depth 2
                                        ;       Child Loop BB23_14 Depth 3
                                        ;       Child Loop BB23_24 Depth 3
	;; [unrolled: 1-line block ×3, first 2 shown]
	s_mov_b32 s39, exec_lo
	v_cmpx_gt_i32_e64 s7, v1
	s_cbranch_execz .LBB23_5
; %bb.7:                                ;   in Loop: Header=BB23_6 Depth=1
	v_ashrrev_i32_e32 v2, 31, v1
	s_mov_b32 s40, exec_lo
	v_lshlrev_b64 v[8:9], 2, v[1:2]
	v_add_co_u32 v10, vcc_lo, s24, v8
	v_add_co_ci_u32_e64 v11, null, s25, v9, vcc_lo
	v_add_co_u32 v12, vcc_lo, s26, v8
	v_add_co_ci_u32_e64 v13, null, s27, v9, vcc_lo
	global_load_dword v2, v[10:11], off
	global_load_dword v5, v[12:13], off
	s_waitcnt vmcnt(1)
	v_add_nc_u32_e32 v7, v20, v2
	s_waitcnt vmcnt(0)
	v_subrev_nc_u32_e32 v2, s35, v5
	v_cmpx_lt_i32_e64 v7, v2
	s_cbranch_execz .LBB23_4
; %bb.8:                                ;   in Loop: Header=BB23_6 Depth=1
	v_add_co_u32 v10, vcc_lo, s16, v8
	v_add_co_ci_u32_e64 v11, null, s17, v9, vcc_lo
	v_add_co_u32 v8, vcc_lo, s18, v8
	v_add_co_ci_u32_e64 v9, null, s19, v9, vcc_lo
	global_load_dword v5, v[10:11], off
	s_mov_b32 s41, 0
	global_load_dword v8, v[8:9], off
	s_waitcnt vmcnt(1)
	v_subrev_nc_u32_e32 v9, s36, v5
	s_waitcnt vmcnt(0)
	v_sub_nc_u32_e32 v21, v8, v5
	v_ashrrev_i32_e32 v10, 31, v9
	v_lshlrev_b64 v[11:12], 2, v[9:10]
	v_lshlrev_b64 v[13:14], 3, v[9:10]
	v_add_co_u32 v22, vcc_lo, s20, v11
	v_add_co_ci_u32_e64 v23, null, s21, v12, vcc_lo
	v_add_co_u32 v24, vcc_lo, s22, v13
	v_add_co_ci_u32_e64 v25, null, s23, v14, vcc_lo
	v_cmp_lt_i32_e32 vcc_lo, 0, v21
	s_branch .LBB23_10
.LBB23_9:                               ;   in Loop: Header=BB23_10 Depth=2
	s_or_b32 exec_lo, exec_lo, s1
	v_lshlrev_b64 v[10:11], 3, v[7:8]
	v_add_nc_u32_e32 v7, 4, v7
	v_add_co_u32 v10, s0, s30, v10
	v_add_co_ci_u32_e64 v11, null, s31, v11, s0
	v_cmp_ge_i32_e64 s0, v7, v2
	global_load_dwordx2 v[10:11], v[10:11], off
	s_waitcnt vmcnt(0)
	v_add_f64 v[10:11], v[10:11], -v[12:13]
	v_cmp_nlg_f64_e64 s1, 0x7ff00000, |v[10:11]|
	v_cmp_gt_f64_e64 s42, v[3:4], |v[10:11]|
	v_and_b32_e32 v5, 0x7fffffff, v11
	s_or_b32 s1, s1, s42
	s_or_b32 s41, s0, s41
	v_cndmask_b32_e64 v4, v5, v4, s1
	v_cndmask_b32_e64 v3, v10, v3, s1
	s_andn2_b32 exec_lo, exec_lo, s41
	s_cbranch_execz .LBB23_3
.LBB23_10:                              ;   Parent Loop BB23_6 Depth=1
                                        ; =>  This Loop Header: Depth=2
                                        ;       Child Loop BB23_14 Depth 3
                                        ;       Child Loop BB23_24 Depth 3
	;; [unrolled: 1-line block ×3, first 2 shown]
	v_ashrrev_i32_e32 v8, 31, v7
	v_lshlrev_b64 v[10:11], 2, v[7:8]
	v_add_co_u32 v10, s0, s28, v10
	v_add_co_ci_u32_e64 v11, null, s29, v11, s0
	global_load_dword v5, v[10:11], off
	s_waitcnt vmcnt(0)
	v_subrev_nc_u32_e32 v10, s35, v5
	v_ashrrev_i32_e32 v11, 31, v10
	v_lshlrev_b64 v[12:13], 2, v[10:11]
	v_add_co_u32 v14, s0, s8, v12
	v_add_co_ci_u32_e64 v15, null, s9, v13, s0
	v_add_co_u32 v12, s0, s10, v12
	v_add_co_ci_u32_e64 v13, null, s11, v13, s0
	global_load_dword v5, v[14:15], off
	global_load_dword v16, v[12:13], off
	v_mov_b32_e32 v15, 0
	v_mov_b32_e32 v12, 0
	v_mov_b32_e32 v13, 0
	s_waitcnt vmcnt(1)
	v_subrev_nc_u32_e32 v14, s37, v5
	s_waitcnt vmcnt(0)
	v_sub_nc_u32_e32 v26, v16, v5
	v_mov_b32_e32 v5, v15
	s_and_saveexec_b32 s42, vcc_lo
	s_cbranch_execz .LBB23_18
; %bb.11:                               ;   in Loop: Header=BB23_10 Depth=2
	v_ashrrev_i32_e32 v15, 31, v14
	v_mov_b32_e32 v12, 0
	v_mov_b32_e32 v13, 0
	;; [unrolled: 1-line block ×3, first 2 shown]
	s_mov_b32 s43, 0
	v_lshlrev_b64 v[27:28], 2, v[14:15]
	v_lshlrev_b64 v[15:16], 3, v[14:15]
                                        ; implicit-def: $sgpr44
	v_add_co_u32 v17, s0, s12, v27
	v_add_co_ci_u32_e64 v27, null, s13, v28, s0
	v_add_co_u32 v28, s0, s14, v15
	v_add_co_ci_u32_e64 v29, null, s15, v16, s0
	v_mov_b32_e32 v15, 0
	s_branch .LBB23_14
.LBB23_12:                              ;   in Loop: Header=BB23_14 Depth=3
	s_or_b32 exec_lo, exec_lo, s1
	v_cmp_le_i32_e64 s0, v30, v31
	v_cmp_ge_i32_e64 s1, v30, v31
	v_add_co_ci_u32_e64 v5, null, 0, v5, s0
	v_add_co_ci_u32_e64 v15, null, 0, v15, s1
	s_andn2_b32 s1, s44, exec_lo
	v_cmp_ge_i32_e64 s0, v5, v21
	s_and_b32 s0, s0, exec_lo
	s_or_b32 s44, s1, s0
.LBB23_13:                              ;   in Loop: Header=BB23_14 Depth=3
	s_or_b32 exec_lo, exec_lo, s45
	s_and_b32 s0, exec_lo, s44
	s_or_b32 s43, s0, s43
	s_andn2_b32 exec_lo, exec_lo, s43
	s_cbranch_execz .LBB23_17
.LBB23_14:                              ;   Parent Loop BB23_6 Depth=1
                                        ;     Parent Loop BB23_10 Depth=2
                                        ; =>    This Inner Loop Header: Depth=3
	s_or_b32 s44, s44, exec_lo
	s_mov_b32 s45, exec_lo
	v_cmpx_lt_i32_e64 v15, v26
	s_cbranch_execz .LBB23_13
; %bb.15:                               ;   in Loop: Header=BB23_14 Depth=3
	v_mov_b32_e32 v16, v6
	v_lshlrev_b64 v[30:31], 2, v[5:6]
	s_mov_b32 s1, exec_lo
	v_lshlrev_b64 v[32:33], 2, v[15:16]
	v_add_co_u32 v30, s0, v22, v30
	v_add_co_ci_u32_e64 v31, null, v23, v31, s0
	v_add_co_u32 v32, s0, v17, v32
	v_add_co_ci_u32_e64 v33, null, v27, v33, s0
	global_load_dword v30, v[30:31], off
	global_load_dword v31, v[32:33], off
	s_waitcnt vmcnt(1)
	v_subrev_nc_u32_e32 v30, s36, v30
	s_waitcnt vmcnt(0)
	v_subrev_nc_u32_e32 v31, s37, v31
	v_cmpx_eq_u32_e64 v30, v31
	s_cbranch_execz .LBB23_12
; %bb.16:                               ;   in Loop: Header=BB23_14 Depth=3
	v_lshlrev_b64 v[32:33], 3, v[5:6]
	v_lshlrev_b64 v[34:35], 3, v[15:16]
	v_add_co_u32 v32, s0, v24, v32
	v_add_co_ci_u32_e64 v33, null, v25, v33, s0
	v_add_co_u32 v34, s0, v28, v34
	v_add_co_ci_u32_e64 v35, null, v29, v35, s0
	global_load_dwordx2 v[32:33], v[32:33], off
	global_load_dwordx2 v[34:35], v[34:35], off
	s_waitcnt vmcnt(0)
	v_fma_f64 v[12:13], v[32:33], v[34:35], v[12:13]
	s_branch .LBB23_12
.LBB23_17:                              ;   in Loop: Header=BB23_10 Depth=2
	s_or_b32 exec_lo, exec_lo, s43
.LBB23_18:                              ;   in Loop: Header=BB23_10 Depth=2
	s_or_b32 exec_lo, exec_lo, s42
	s_mov_b32 s1, exec_lo
	v_cmpx_ge_i32_e64 v15, v26
	s_xor_b32 s1, exec_lo, s1
	s_cbranch_execnz .LBB23_21
; %bb.19:                               ;   in Loop: Header=BB23_10 Depth=2
	s_andn2_saveexec_b32 s1, s1
	s_cbranch_execnz .LBB23_30
.LBB23_20:                              ;   in Loop: Header=BB23_10 Depth=2
	s_or_b32 exec_lo, exec_lo, s1
	s_mov_b32 s1, exec_lo
	v_cmpx_eq_u32_e64 v1, v10
	s_cbranch_execz .LBB23_9
	s_branch .LBB23_37
.LBB23_21:                              ;   in Loop: Header=BB23_10 Depth=2
	s_mov_b32 s42, exec_lo
	v_cmpx_lt_i32_e64 v5, v21
	s_cbranch_execz .LBB23_29
; %bb.22:                               ;   in Loop: Header=BB23_10 Depth=2
	s_mov_b32 s43, 0
                                        ; implicit-def: $sgpr44
                                        ; implicit-def: $sgpr46
                                        ; implicit-def: $sgpr45
	s_inst_prefetch 0x1
	s_branch .LBB23_24
	.p2align	6
.LBB23_23:                              ;   in Loop: Header=BB23_24 Depth=3
	s_or_b32 exec_lo, exec_lo, s47
	s_and_b32 s0, exec_lo, s46
	s_or_b32 s43, s0, s43
	s_andn2_b32 s0, s44, exec_lo
	s_and_b32 s44, s45, exec_lo
	s_or_b32 s44, s0, s44
	s_andn2_b32 exec_lo, exec_lo, s43
	s_cbranch_execz .LBB23_26
.LBB23_24:                              ;   Parent Loop BB23_6 Depth=1
                                        ;     Parent Loop BB23_10 Depth=2
                                        ; =>    This Inner Loop Header: Depth=3
	v_add_nc_u32_e32 v14, v9, v5
	s_or_b32 s45, s45, exec_lo
	s_or_b32 s46, s46, exec_lo
	s_mov_b32 s47, exec_lo
	v_ashrrev_i32_e32 v15, 31, v14
	v_lshlrev_b64 v[16:17], 2, v[14:15]
	v_add_co_u32 v16, s0, s20, v16
	v_add_co_ci_u32_e64 v17, null, s21, v17, s0
	global_load_dword v16, v[16:17], off
	s_waitcnt vmcnt(0)
	v_subrev_nc_u32_e32 v16, s36, v16
	v_cmpx_ne_u32_e64 v16, v10
	s_cbranch_execz .LBB23_23
; %bb.25:                               ;   in Loop: Header=BB23_24 Depth=3
	v_add_nc_u32_e32 v5, 1, v5
	s_andn2_b32 s46, s46, exec_lo
	s_andn2_b32 s45, s45, exec_lo
	v_cmp_ge_i32_e64 s0, v5, v21
	s_and_b32 s0, s0, exec_lo
	s_or_b32 s46, s46, s0
	s_branch .LBB23_23
.LBB23_26:                              ;   in Loop: Header=BB23_10 Depth=2
	s_inst_prefetch 0x2
	s_or_b32 exec_lo, exec_lo, s43
	s_and_saveexec_b32 s0, s44
	s_xor_b32 s43, exec_lo, s0
	s_cbranch_execz .LBB23_28
; %bb.27:                               ;   in Loop: Header=BB23_10 Depth=2
	v_lshlrev_b64 v[14:15], 3, v[14:15]
	v_lshlrev_b64 v[16:17], 3, v[10:11]
	v_add_co_u32 v14, s0, s22, v14
	v_add_co_ci_u32_e64 v15, null, s23, v15, s0
	v_add_co_u32 v16, s0, s2, v16
	v_add_co_ci_u32_e64 v17, null, s3, v17, s0
	global_load_dwordx2 v[14:15], v[14:15], off
	global_load_dwordx2 v[16:17], v[16:17], off
	s_waitcnt vmcnt(0)
	v_fma_f64 v[12:13], v[14:15], v[16:17], v[12:13]
.LBB23_28:                              ;   in Loop: Header=BB23_10 Depth=2
	s_or_b32 exec_lo, exec_lo, s43
.LBB23_29:                              ;   in Loop: Header=BB23_10 Depth=2
	s_or_b32 exec_lo, exec_lo, s42
                                        ; implicit-def: $vgpr15
                                        ; implicit-def: $vgpr14
                                        ; implicit-def: $vgpr26
	s_andn2_saveexec_b32 s1, s1
	s_cbranch_execz .LBB23_20
.LBB23_30:                              ;   in Loop: Header=BB23_10 Depth=2
	s_mov_b32 s42, 0
                                        ; implicit-def: $sgpr43
                                        ; implicit-def: $sgpr45
                                        ; implicit-def: $sgpr44
	s_inst_prefetch 0x1
	s_branch .LBB23_32
	.p2align	6
.LBB23_31:                              ;   in Loop: Header=BB23_32 Depth=3
	s_or_b32 exec_lo, exec_lo, s46
	s_and_b32 s0, exec_lo, s45
	s_or_b32 s42, s0, s42
	s_andn2_b32 s0, s43, exec_lo
	s_and_b32 s43, s44, exec_lo
	s_or_b32 s43, s0, s43
	s_andn2_b32 exec_lo, exec_lo, s42
	s_cbranch_execz .LBB23_34
.LBB23_32:                              ;   Parent Loop BB23_6 Depth=1
                                        ;     Parent Loop BB23_10 Depth=2
                                        ; =>    This Inner Loop Header: Depth=3
	v_add_nc_u32_e32 v16, v14, v15
	s_or_b32 s44, s44, exec_lo
	s_or_b32 s45, s45, exec_lo
	s_mov_b32 s46, exec_lo
	v_ashrrev_i32_e32 v17, 31, v16
	v_lshlrev_b64 v[27:28], 2, v[16:17]
	v_add_co_u32 v27, s0, s12, v27
	v_add_co_ci_u32_e64 v28, null, s13, v28, s0
	global_load_dword v5, v[27:28], off
	s_waitcnt vmcnt(0)
	v_subrev_nc_u32_e32 v5, s37, v5
	v_cmpx_ne_u32_e64 v5, v1
	s_cbranch_execz .LBB23_31
; %bb.33:                               ;   in Loop: Header=BB23_32 Depth=3
	v_add_nc_u32_e32 v15, 1, v15
	s_andn2_b32 s45, s45, exec_lo
	s_andn2_b32 s44, s44, exec_lo
	v_cmp_ge_i32_e64 s0, v15, v26
	s_and_b32 s0, s0, exec_lo
	s_or_b32 s45, s45, s0
	s_branch .LBB23_31
.LBB23_34:                              ;   in Loop: Header=BB23_10 Depth=2
	s_inst_prefetch 0x2
	s_or_b32 exec_lo, exec_lo, s42
	s_and_saveexec_b32 s0, s43
	s_xor_b32 s42, exec_lo, s0
	s_cbranch_execz .LBB23_36
; %bb.35:                               ;   in Loop: Header=BB23_10 Depth=2
	v_lshlrev_b64 v[14:15], 3, v[16:17]
	v_add_co_u32 v14, s0, s14, v14
	v_add_co_ci_u32_e64 v15, null, s15, v15, s0
	global_load_dwordx2 v[14:15], v[14:15], off
	s_waitcnt vmcnt(0)
	v_add_f64 v[12:13], v[12:13], v[14:15]
.LBB23_36:                              ;   in Loop: Header=BB23_10 Depth=2
	s_or_b32 exec_lo, exec_lo, s42
	s_or_b32 exec_lo, exec_lo, s1
	s_mov_b32 s1, exec_lo
	v_cmpx_eq_u32_e64 v1, v10
	s_cbranch_execz .LBB23_9
.LBB23_37:                              ;   in Loop: Header=BB23_10 Depth=2
	v_lshlrev_b64 v[10:11], 3, v[10:11]
	v_add_co_u32 v10, s0, s2, v10
	v_add_co_ci_u32_e64 v11, null, s3, v11, s0
	global_load_dwordx2 v[10:11], v[10:11], off
	s_waitcnt vmcnt(0)
	v_add_f64 v[12:13], v[12:13], v[10:11]
	s_branch .LBB23_9
.LBB23_38:
	s_or_b32 exec_lo, exec_lo, s38
.LBB23_39:
	s_or_b32 exec_lo, exec_lo, s33
.LBB23_40:
	s_or_b32 exec_lo, exec_lo, s6
	v_mbcnt_lo_u32_b32 v5, -1, 0
	v_xor_b32_e32 v1, 2, v5
	v_xor_b32_e32 v6, 1, v5
	v_cmp_gt_i32_e32 vcc_lo, 32, v1
	v_cmp_gt_i32_e64 s0, 32, v6
	v_cndmask_b32_e32 v1, v5, v1, vcc_lo
	v_cndmask_b32_e64 v5, v5, v6, s0
	s_mov_b32 s0, exec_lo
	v_lshlrev_b32_e32 v2, 2, v1
	v_lshlrev_b32_e32 v5, 2, v5
	ds_bpermute_b32 v1, v2, v3
	ds_bpermute_b32 v2, v2, v4
	s_waitcnt lgkmcnt(0)
	v_cmp_lt_f64_e32 vcc_lo, v[3:4], v[1:2]
	v_cndmask_b32_e32 v2, v4, v2, vcc_lo
	v_cndmask_b32_e32 v1, v3, v1, vcc_lo
	ds_bpermute_b32 v3, v5, v1
	ds_bpermute_b32 v5, v5, v2
	v_cmpx_eq_u32_e32 3, v19
	s_cbranch_execz .LBB23_42
; %bb.41:
	s_waitcnt lgkmcnt(0)
	v_mov_b32_e32 v4, v5
	v_cmp_lt_f64_e32 vcc_lo, v[1:2], v[3:4]
	v_lshlrev_b32_e32 v4, 3, v18
	v_cndmask_b32_e32 v2, v2, v5, vcc_lo
	v_cndmask_b32_e32 v1, v1, v3, vcc_lo
	ds_write_b64 v4, v[1:2]
.LBB23_42:
	s_or_b32 exec_lo, exec_lo, s0
	v_lshlrev_b32_e32 v1, 3, v0
	s_mov_b32 s0, exec_lo
	s_waitcnt lgkmcnt(0)
	s_barrier
	buffer_gl0_inv
	v_cmpx_gt_u32_e32 0x80, v0
	s_cbranch_execz .LBB23_44
; %bb.43:
	ds_read2st64_b64 v[2:5], v1 offset1:2
	s_waitcnt lgkmcnt(0)
	v_cmp_lt_f64_e32 vcc_lo, v[2:3], v[4:5]
	v_cndmask_b32_e32 v3, v3, v5, vcc_lo
	v_cndmask_b32_e32 v2, v2, v4, vcc_lo
	ds_write_b64 v1, v[2:3]
.LBB23_44:
	s_or_b32 exec_lo, exec_lo, s0
	s_mov_b32 s0, exec_lo
	s_waitcnt lgkmcnt(0)
	s_barrier
	buffer_gl0_inv
	v_cmpx_gt_u32_e32 64, v0
	s_cbranch_execz .LBB23_46
; %bb.45:
	ds_read2st64_b64 v[2:5], v1 offset1:1
	s_waitcnt lgkmcnt(0)
	v_cmp_lt_f64_e32 vcc_lo, v[2:3], v[4:5]
	v_cndmask_b32_e32 v3, v3, v5, vcc_lo
	v_cndmask_b32_e32 v2, v2, v4, vcc_lo
	ds_write_b64 v1, v[2:3]
.LBB23_46:
	s_or_b32 exec_lo, exec_lo, s0
	s_mov_b32 s0, exec_lo
	s_waitcnt lgkmcnt(0)
	s_barrier
	buffer_gl0_inv
	v_cmpx_gt_u32_e32 32, v0
	s_cbranch_execz .LBB23_48
; %bb.47:
	ds_read2_b64 v[2:5], v1 offset1:32
	s_waitcnt lgkmcnt(0)
	v_cmp_lt_f64_e32 vcc_lo, v[2:3], v[4:5]
	v_cndmask_b32_e32 v3, v3, v5, vcc_lo
	v_cndmask_b32_e32 v2, v2, v4, vcc_lo
	ds_write_b64 v1, v[2:3]
.LBB23_48:
	s_or_b32 exec_lo, exec_lo, s0
	s_mov_b32 s0, exec_lo
	s_waitcnt lgkmcnt(0)
	s_barrier
	buffer_gl0_inv
	v_cmpx_gt_u32_e32 16, v0
	s_cbranch_execz .LBB23_50
; %bb.49:
	ds_read2_b64 v[2:5], v1 offset1:16
	s_waitcnt lgkmcnt(0)
	v_cmp_lt_f64_e32 vcc_lo, v[2:3], v[4:5]
	v_cndmask_b32_e32 v3, v3, v5, vcc_lo
	v_cndmask_b32_e32 v2, v2, v4, vcc_lo
	ds_write_b64 v1, v[2:3]
.LBB23_50:
	;; [unrolled: 15-line block ×5, first 2 shown]
	s_or_b32 exec_lo, exec_lo, s0
	v_cmp_eq_u32_e32 vcc_lo, 0, v0
	s_waitcnt lgkmcnt(0)
	s_barrier
	buffer_gl0_inv
	s_and_saveexec_b32 s1, vcc_lo
	s_cbranch_execz .LBB23_58
; %bb.57:
	v_mov_b32_e32 v4, 0
	ds_read_b128 v[0:3], v4
	s_waitcnt lgkmcnt(0)
	v_cmp_lt_f64_e64 s0, v[0:1], v[2:3]
	v_cndmask_b32_e64 v1, v1, v3, s0
	v_cndmask_b32_e64 v0, v0, v2, s0
	ds_write_b64 v4, v[0:1]
.LBB23_58:
	s_or_b32 exec_lo, exec_lo, s1
	s_waitcnt lgkmcnt(0)
	s_barrier
	buffer_gl0_inv
	s_and_saveexec_b32 s0, vcc_lo
	s_cbranch_execz .LBB23_62
; %bb.59:
	v_mbcnt_lo_u32_b32 v0, exec_lo, 0
	s_mov_b32 s6, 0
	v_cmp_eq_u32_e32 vcc_lo, 0, v0
	s_and_b32 exec_lo, exec_lo, vcc_lo
	s_cbranch_execz .LBB23_62
; %bb.60:
	s_load_dwordx4 s[0:3], s[4:5], 0x88
	v_mov_b32_e32 v6, 0
	ds_read_b64 v[0:1], v6
	s_waitcnt lgkmcnt(0)
	s_load_dwordx2 s[2:3], s[2:3], 0x0
	s_waitcnt lgkmcnt(0)
	v_div_scale_f64 v[2:3], null, s[2:3], s[2:3], v[0:1]
	v_rcp_f64_e32 v[4:5], v[2:3]
	v_fma_f64 v[7:8], -v[2:3], v[4:5], 1.0
	v_fma_f64 v[4:5], v[4:5], v[7:8], v[4:5]
	v_fma_f64 v[7:8], -v[2:3], v[4:5], 1.0
	v_fma_f64 v[4:5], v[4:5], v[7:8], v[4:5]
	v_div_scale_f64 v[7:8], vcc_lo, v[0:1], s[2:3], v[0:1]
	v_mul_f64 v[9:10], v[7:8], v[4:5]
	v_fma_f64 v[2:3], -v[2:3], v[9:10], v[7:8]
	v_div_fmas_f64 v[2:3], v[2:3], v[4:5], v[9:10]
	v_div_fixup_f64 v[0:1], v[2:3], s[2:3], v[0:1]
	s_load_dwordx2 s[2:3], s[0:1], 0x0
	s_waitcnt lgkmcnt(0)
	v_mov_b32_e32 v2, s2
	v_max_f64 v[4:5], v[0:1], v[0:1]
	v_mov_b32_e32 v3, s3
.LBB23_61:                              ; =>This Inner Loop Header: Depth=1
	v_max_f64 v[0:1], v[2:3], v[2:3]
	v_max_f64 v[0:1], v[0:1], v[4:5]
	global_atomic_cmpswap_x2 v[0:1], v6, v[0:3], s[0:1] glc
	s_waitcnt vmcnt(0)
	v_cmp_eq_u64_e32 vcc_lo, v[0:1], v[2:3]
	v_mov_b32_e32 v3, v1
	v_mov_b32_e32 v2, v0
	s_or_b32 s6, vcc_lo, s6
	s_andn2_b32 exec_lo, exec_lo, s6
	s_cbranch_execnz .LBB23_61
.LBB23_62:
	s_endpgm
	.section	.rodata,"a",@progbits
	.p2align	6, 0x0
	.amdhsa_kernel _ZN9rocsparseL19kernel_nrm_residualILi1024ELi4EdiiEEvT3_T2_PKS2_S4_PKS1_PKT1_21rocsparse_index_base_S4_S4_S6_S9_SA_S4_S4_S6_S9_SA_S9_PNS_15floating_traitsIS7_E6data_tEPKSD_
		.amdhsa_group_segment_fixed_size 2048
		.amdhsa_private_segment_fixed_size 0
		.amdhsa_kernarg_size 152
		.amdhsa_user_sgpr_count 6
		.amdhsa_user_sgpr_private_segment_buffer 1
		.amdhsa_user_sgpr_dispatch_ptr 0
		.amdhsa_user_sgpr_queue_ptr 0
		.amdhsa_user_sgpr_kernarg_segment_ptr 1
		.amdhsa_user_sgpr_dispatch_id 0
		.amdhsa_user_sgpr_flat_scratch_init 0
		.amdhsa_user_sgpr_private_segment_size 0
		.amdhsa_wavefront_size32 1
		.amdhsa_uses_dynamic_stack 0
		.amdhsa_system_sgpr_private_segment_wavefront_offset 0
		.amdhsa_system_sgpr_workgroup_id_x 1
		.amdhsa_system_sgpr_workgroup_id_y 0
		.amdhsa_system_sgpr_workgroup_id_z 0
		.amdhsa_system_sgpr_workgroup_info 0
		.amdhsa_system_vgpr_workitem_id 0
		.amdhsa_next_free_vgpr 36
		.amdhsa_next_free_sgpr 48
		.amdhsa_reserve_vcc 1
		.amdhsa_reserve_flat_scratch 0
		.amdhsa_float_round_mode_32 0
		.amdhsa_float_round_mode_16_64 0
		.amdhsa_float_denorm_mode_32 3
		.amdhsa_float_denorm_mode_16_64 3
		.amdhsa_dx10_clamp 1
		.amdhsa_ieee_mode 1
		.amdhsa_fp16_overflow 0
		.amdhsa_workgroup_processor_mode 1
		.amdhsa_memory_ordered 1
		.amdhsa_forward_progress 1
		.amdhsa_shared_vgpr_count 0
		.amdhsa_exception_fp_ieee_invalid_op 0
		.amdhsa_exception_fp_denorm_src 0
		.amdhsa_exception_fp_ieee_div_zero 0
		.amdhsa_exception_fp_ieee_overflow 0
		.amdhsa_exception_fp_ieee_underflow 0
		.amdhsa_exception_fp_ieee_inexact 0
		.amdhsa_exception_int_div_zero 0
	.end_amdhsa_kernel
	.section	.text._ZN9rocsparseL19kernel_nrm_residualILi1024ELi4EdiiEEvT3_T2_PKS2_S4_PKS1_PKT1_21rocsparse_index_base_S4_S4_S6_S9_SA_S4_S4_S6_S9_SA_S9_PNS_15floating_traitsIS7_E6data_tEPKSD_,"axG",@progbits,_ZN9rocsparseL19kernel_nrm_residualILi1024ELi4EdiiEEvT3_T2_PKS2_S4_PKS1_PKT1_21rocsparse_index_base_S4_S4_S6_S9_SA_S4_S4_S6_S9_SA_S9_PNS_15floating_traitsIS7_E6data_tEPKSD_,comdat
.Lfunc_end23:
	.size	_ZN9rocsparseL19kernel_nrm_residualILi1024ELi4EdiiEEvT3_T2_PKS2_S4_PKS1_PKT1_21rocsparse_index_base_S4_S4_S6_S9_SA_S4_S4_S6_S9_SA_S9_PNS_15floating_traitsIS7_E6data_tEPKSD_, .Lfunc_end23-_ZN9rocsparseL19kernel_nrm_residualILi1024ELi4EdiiEEvT3_T2_PKS2_S4_PKS1_PKT1_21rocsparse_index_base_S4_S4_S6_S9_SA_S4_S4_S6_S9_SA_S9_PNS_15floating_traitsIS7_E6data_tEPKSD_
                                        ; -- End function
	.set _ZN9rocsparseL19kernel_nrm_residualILi1024ELi4EdiiEEvT3_T2_PKS2_S4_PKS1_PKT1_21rocsparse_index_base_S4_S4_S6_S9_SA_S4_S4_S6_S9_SA_S9_PNS_15floating_traitsIS7_E6data_tEPKSD_.num_vgpr, 36
	.set _ZN9rocsparseL19kernel_nrm_residualILi1024ELi4EdiiEEvT3_T2_PKS2_S4_PKS1_PKT1_21rocsparse_index_base_S4_S4_S6_S9_SA_S4_S4_S6_S9_SA_S9_PNS_15floating_traitsIS7_E6data_tEPKSD_.num_agpr, 0
	.set _ZN9rocsparseL19kernel_nrm_residualILi1024ELi4EdiiEEvT3_T2_PKS2_S4_PKS1_PKT1_21rocsparse_index_base_S4_S4_S6_S9_SA_S4_S4_S6_S9_SA_S9_PNS_15floating_traitsIS7_E6data_tEPKSD_.numbered_sgpr, 48
	.set _ZN9rocsparseL19kernel_nrm_residualILi1024ELi4EdiiEEvT3_T2_PKS2_S4_PKS1_PKT1_21rocsparse_index_base_S4_S4_S6_S9_SA_S4_S4_S6_S9_SA_S9_PNS_15floating_traitsIS7_E6data_tEPKSD_.num_named_barrier, 0
	.set _ZN9rocsparseL19kernel_nrm_residualILi1024ELi4EdiiEEvT3_T2_PKS2_S4_PKS1_PKT1_21rocsparse_index_base_S4_S4_S6_S9_SA_S4_S4_S6_S9_SA_S9_PNS_15floating_traitsIS7_E6data_tEPKSD_.private_seg_size, 0
	.set _ZN9rocsparseL19kernel_nrm_residualILi1024ELi4EdiiEEvT3_T2_PKS2_S4_PKS1_PKT1_21rocsparse_index_base_S4_S4_S6_S9_SA_S4_S4_S6_S9_SA_S9_PNS_15floating_traitsIS7_E6data_tEPKSD_.uses_vcc, 1
	.set _ZN9rocsparseL19kernel_nrm_residualILi1024ELi4EdiiEEvT3_T2_PKS2_S4_PKS1_PKT1_21rocsparse_index_base_S4_S4_S6_S9_SA_S4_S4_S6_S9_SA_S9_PNS_15floating_traitsIS7_E6data_tEPKSD_.uses_flat_scratch, 0
	.set _ZN9rocsparseL19kernel_nrm_residualILi1024ELi4EdiiEEvT3_T2_PKS2_S4_PKS1_PKT1_21rocsparse_index_base_S4_S4_S6_S9_SA_S4_S4_S6_S9_SA_S9_PNS_15floating_traitsIS7_E6data_tEPKSD_.has_dyn_sized_stack, 0
	.set _ZN9rocsparseL19kernel_nrm_residualILi1024ELi4EdiiEEvT3_T2_PKS2_S4_PKS1_PKT1_21rocsparse_index_base_S4_S4_S6_S9_SA_S4_S4_S6_S9_SA_S9_PNS_15floating_traitsIS7_E6data_tEPKSD_.has_recursion, 0
	.set _ZN9rocsparseL19kernel_nrm_residualILi1024ELi4EdiiEEvT3_T2_PKS2_S4_PKS1_PKT1_21rocsparse_index_base_S4_S4_S6_S9_SA_S4_S4_S6_S9_SA_S9_PNS_15floating_traitsIS7_E6data_tEPKSD_.has_indirect_call, 0
	.section	.AMDGPU.csdata,"",@progbits
; Kernel info:
; codeLenInByte = 2688
; TotalNumSgprs: 50
; NumVgprs: 36
; ScratchSize: 0
; MemoryBound: 1
; FloatMode: 240
; IeeeMode: 1
; LDSByteSize: 2048 bytes/workgroup (compile time only)
; SGPRBlocks: 0
; VGPRBlocks: 4
; NumSGPRsForWavesPerEU: 50
; NumVGPRsForWavesPerEU: 36
; Occupancy: 16
; WaveLimiterHint : 1
; COMPUTE_PGM_RSRC2:SCRATCH_EN: 0
; COMPUTE_PGM_RSRC2:USER_SGPR: 6
; COMPUTE_PGM_RSRC2:TRAP_HANDLER: 0
; COMPUTE_PGM_RSRC2:TGID_X_EN: 1
; COMPUTE_PGM_RSRC2:TGID_Y_EN: 0
; COMPUTE_PGM_RSRC2:TGID_Z_EN: 0
; COMPUTE_PGM_RSRC2:TIDIG_COMP_CNT: 0
	.section	.text._ZN9rocsparseL19kernel_nrm_residualILi1024ELi8EdiiEEvT3_T2_PKS2_S4_PKS1_PKT1_21rocsparse_index_base_S4_S4_S6_S9_SA_S4_S4_S6_S9_SA_S9_PNS_15floating_traitsIS7_E6data_tEPKSD_,"axG",@progbits,_ZN9rocsparseL19kernel_nrm_residualILi1024ELi8EdiiEEvT3_T2_PKS2_S4_PKS1_PKT1_21rocsparse_index_base_S4_S4_S6_S9_SA_S4_S4_S6_S9_SA_S9_PNS_15floating_traitsIS7_E6data_tEPKSD_,comdat
	.globl	_ZN9rocsparseL19kernel_nrm_residualILi1024ELi8EdiiEEvT3_T2_PKS2_S4_PKS1_PKT1_21rocsparse_index_base_S4_S4_S6_S9_SA_S4_S4_S6_S9_SA_S9_PNS_15floating_traitsIS7_E6data_tEPKSD_ ; -- Begin function _ZN9rocsparseL19kernel_nrm_residualILi1024ELi8EdiiEEvT3_T2_PKS2_S4_PKS1_PKT1_21rocsparse_index_base_S4_S4_S6_S9_SA_S4_S4_S6_S9_SA_S9_PNS_15floating_traitsIS7_E6data_tEPKSD_
	.p2align	8
	.type	_ZN9rocsparseL19kernel_nrm_residualILi1024ELi8EdiiEEvT3_T2_PKS2_S4_PKS1_PKT1_21rocsparse_index_base_S4_S4_S6_S9_SA_S4_S4_S6_S9_SA_S9_PNS_15floating_traitsIS7_E6data_tEPKSD_,@function
_ZN9rocsparseL19kernel_nrm_residualILi1024ELi8EdiiEEvT3_T2_PKS2_S4_PKS1_PKT1_21rocsparse_index_base_S4_S4_S6_S9_SA_S4_S4_S6_S9_SA_S9_PNS_15floating_traitsIS7_E6data_tEPKSD_: ; @_ZN9rocsparseL19kernel_nrm_residualILi1024ELi8EdiiEEvT3_T2_PKS2_S4_PKS1_PKT1_21rocsparse_index_base_S4_S4_S6_S9_SA_S4_S4_S6_S9_SA_S9_PNS_15floating_traitsIS7_E6data_tEPKSD_
; %bb.0:
	s_load_dword s7, s[4:5], 0x0
	v_lshrrev_b32_e32 v18, 3, v0
	s_lshl_b32 s34, s6, 10
	v_mov_b32_e32 v3, 0
	v_and_b32_e32 v19, 7, v0
	v_mov_b32_e32 v4, 0
	v_or_b32_e32 v1, s34, v18
	s_mov_b32 s6, exec_lo
	s_waitcnt lgkmcnt(0)
	v_cmpx_gt_i32_e64 s7, v1
	s_cbranch_execz .LBB24_40
; %bb.1:
	v_mov_b32_e32 v3, 0
	v_mov_b32_e32 v4, 0
	s_addk_i32 s34, 0x400
	s_mov_b32 s33, exec_lo
	v_cmpx_gt_u32_e64 s34, v1
	s_cbranch_execz .LBB24_39
; %bb.2:
	s_clause 0x6
	s_load_dword s35, s[4:5], 0x28
	s_load_dwordx8 s[8:15], s[4:5], 0x58
	s_load_dwordx8 s[16:23], s[4:5], 0x30
	;; [unrolled: 1-line block ×3, first 2 shown]
	s_load_dword s36, s[4:5], 0x50
	s_load_dwordx2 s[2:3], s[4:5], 0x80
	s_load_dword s37, s[4:5], 0x78
	v_mov_b32_e32 v3, 0
	v_mov_b32_e32 v4, 0
	v_mov_b32_e32 v6, 0
	s_mov_b32 s38, 0
	s_waitcnt lgkmcnt(0)
	v_subrev_nc_u32_e32 v20, s35, v19
	s_branch .LBB24_6
.LBB24_3:                               ;   in Loop: Header=BB24_6 Depth=1
	s_or_b32 exec_lo, exec_lo, s41
.LBB24_4:                               ;   in Loop: Header=BB24_6 Depth=1
	s_or_b32 exec_lo, exec_lo, s40
.LBB24_5:                               ;   in Loop: Header=BB24_6 Depth=1
	s_or_b32 exec_lo, exec_lo, s39
	v_add_nc_u32_e32 v1, 0x80, v1
	v_cmp_le_u32_e32 vcc_lo, s34, v1
	s_or_b32 s38, vcc_lo, s38
	s_andn2_b32 exec_lo, exec_lo, s38
	s_cbranch_execz .LBB24_38
.LBB24_6:                               ; =>This Loop Header: Depth=1
                                        ;     Child Loop BB24_10 Depth 2
                                        ;       Child Loop BB24_14 Depth 3
                                        ;       Child Loop BB24_24 Depth 3
	;; [unrolled: 1-line block ×3, first 2 shown]
	s_mov_b32 s39, exec_lo
	v_cmpx_gt_i32_e64 s7, v1
	s_cbranch_execz .LBB24_5
; %bb.7:                                ;   in Loop: Header=BB24_6 Depth=1
	v_ashrrev_i32_e32 v2, 31, v1
	s_mov_b32 s40, exec_lo
	v_lshlrev_b64 v[8:9], 2, v[1:2]
	v_add_co_u32 v10, vcc_lo, s24, v8
	v_add_co_ci_u32_e64 v11, null, s25, v9, vcc_lo
	v_add_co_u32 v12, vcc_lo, s26, v8
	v_add_co_ci_u32_e64 v13, null, s27, v9, vcc_lo
	global_load_dword v2, v[10:11], off
	global_load_dword v5, v[12:13], off
	s_waitcnt vmcnt(1)
	v_add_nc_u32_e32 v7, v20, v2
	s_waitcnt vmcnt(0)
	v_subrev_nc_u32_e32 v2, s35, v5
	v_cmpx_lt_i32_e64 v7, v2
	s_cbranch_execz .LBB24_4
; %bb.8:                                ;   in Loop: Header=BB24_6 Depth=1
	v_add_co_u32 v10, vcc_lo, s16, v8
	v_add_co_ci_u32_e64 v11, null, s17, v9, vcc_lo
	v_add_co_u32 v8, vcc_lo, s18, v8
	v_add_co_ci_u32_e64 v9, null, s19, v9, vcc_lo
	global_load_dword v5, v[10:11], off
	s_mov_b32 s41, 0
	global_load_dword v8, v[8:9], off
	s_waitcnt vmcnt(1)
	v_subrev_nc_u32_e32 v9, s36, v5
	s_waitcnt vmcnt(0)
	v_sub_nc_u32_e32 v21, v8, v5
	v_ashrrev_i32_e32 v10, 31, v9
	v_lshlrev_b64 v[11:12], 2, v[9:10]
	v_lshlrev_b64 v[13:14], 3, v[9:10]
	v_add_co_u32 v22, vcc_lo, s20, v11
	v_add_co_ci_u32_e64 v23, null, s21, v12, vcc_lo
	v_add_co_u32 v24, vcc_lo, s22, v13
	v_add_co_ci_u32_e64 v25, null, s23, v14, vcc_lo
	v_cmp_lt_i32_e32 vcc_lo, 0, v21
	s_branch .LBB24_10
.LBB24_9:                               ;   in Loop: Header=BB24_10 Depth=2
	s_or_b32 exec_lo, exec_lo, s1
	v_lshlrev_b64 v[10:11], 3, v[7:8]
	v_add_nc_u32_e32 v7, 8, v7
	v_add_co_u32 v10, s0, s30, v10
	v_add_co_ci_u32_e64 v11, null, s31, v11, s0
	v_cmp_ge_i32_e64 s0, v7, v2
	global_load_dwordx2 v[10:11], v[10:11], off
	s_waitcnt vmcnt(0)
	v_add_f64 v[10:11], v[10:11], -v[12:13]
	v_cmp_nlg_f64_e64 s1, 0x7ff00000, |v[10:11]|
	v_cmp_gt_f64_e64 s42, v[3:4], |v[10:11]|
	v_and_b32_e32 v5, 0x7fffffff, v11
	s_or_b32 s1, s1, s42
	s_or_b32 s41, s0, s41
	v_cndmask_b32_e64 v4, v5, v4, s1
	v_cndmask_b32_e64 v3, v10, v3, s1
	s_andn2_b32 exec_lo, exec_lo, s41
	s_cbranch_execz .LBB24_3
.LBB24_10:                              ;   Parent Loop BB24_6 Depth=1
                                        ; =>  This Loop Header: Depth=2
                                        ;       Child Loop BB24_14 Depth 3
                                        ;       Child Loop BB24_24 Depth 3
	;; [unrolled: 1-line block ×3, first 2 shown]
	v_ashrrev_i32_e32 v8, 31, v7
	v_lshlrev_b64 v[10:11], 2, v[7:8]
	v_add_co_u32 v10, s0, s28, v10
	v_add_co_ci_u32_e64 v11, null, s29, v11, s0
	global_load_dword v5, v[10:11], off
	s_waitcnt vmcnt(0)
	v_subrev_nc_u32_e32 v10, s35, v5
	v_ashrrev_i32_e32 v11, 31, v10
	v_lshlrev_b64 v[12:13], 2, v[10:11]
	v_add_co_u32 v14, s0, s8, v12
	v_add_co_ci_u32_e64 v15, null, s9, v13, s0
	v_add_co_u32 v12, s0, s10, v12
	v_add_co_ci_u32_e64 v13, null, s11, v13, s0
	global_load_dword v5, v[14:15], off
	global_load_dword v16, v[12:13], off
	v_mov_b32_e32 v15, 0
	v_mov_b32_e32 v12, 0
	v_mov_b32_e32 v13, 0
	s_waitcnt vmcnt(1)
	v_subrev_nc_u32_e32 v14, s37, v5
	s_waitcnt vmcnt(0)
	v_sub_nc_u32_e32 v26, v16, v5
	v_mov_b32_e32 v5, v15
	s_and_saveexec_b32 s42, vcc_lo
	s_cbranch_execz .LBB24_18
; %bb.11:                               ;   in Loop: Header=BB24_10 Depth=2
	v_ashrrev_i32_e32 v15, 31, v14
	v_mov_b32_e32 v12, 0
	v_mov_b32_e32 v13, 0
	;; [unrolled: 1-line block ×3, first 2 shown]
	s_mov_b32 s43, 0
	v_lshlrev_b64 v[27:28], 2, v[14:15]
	v_lshlrev_b64 v[15:16], 3, v[14:15]
                                        ; implicit-def: $sgpr44
	v_add_co_u32 v17, s0, s12, v27
	v_add_co_ci_u32_e64 v27, null, s13, v28, s0
	v_add_co_u32 v28, s0, s14, v15
	v_add_co_ci_u32_e64 v29, null, s15, v16, s0
	v_mov_b32_e32 v15, 0
	s_branch .LBB24_14
.LBB24_12:                              ;   in Loop: Header=BB24_14 Depth=3
	s_or_b32 exec_lo, exec_lo, s1
	v_cmp_le_i32_e64 s0, v30, v31
	v_cmp_ge_i32_e64 s1, v30, v31
	v_add_co_ci_u32_e64 v5, null, 0, v5, s0
	v_add_co_ci_u32_e64 v15, null, 0, v15, s1
	s_andn2_b32 s1, s44, exec_lo
	v_cmp_ge_i32_e64 s0, v5, v21
	s_and_b32 s0, s0, exec_lo
	s_or_b32 s44, s1, s0
.LBB24_13:                              ;   in Loop: Header=BB24_14 Depth=3
	s_or_b32 exec_lo, exec_lo, s45
	s_and_b32 s0, exec_lo, s44
	s_or_b32 s43, s0, s43
	s_andn2_b32 exec_lo, exec_lo, s43
	s_cbranch_execz .LBB24_17
.LBB24_14:                              ;   Parent Loop BB24_6 Depth=1
                                        ;     Parent Loop BB24_10 Depth=2
                                        ; =>    This Inner Loop Header: Depth=3
	s_or_b32 s44, s44, exec_lo
	s_mov_b32 s45, exec_lo
	v_cmpx_lt_i32_e64 v15, v26
	s_cbranch_execz .LBB24_13
; %bb.15:                               ;   in Loop: Header=BB24_14 Depth=3
	v_mov_b32_e32 v16, v6
	v_lshlrev_b64 v[30:31], 2, v[5:6]
	s_mov_b32 s1, exec_lo
	v_lshlrev_b64 v[32:33], 2, v[15:16]
	v_add_co_u32 v30, s0, v22, v30
	v_add_co_ci_u32_e64 v31, null, v23, v31, s0
	v_add_co_u32 v32, s0, v17, v32
	v_add_co_ci_u32_e64 v33, null, v27, v33, s0
	global_load_dword v30, v[30:31], off
	global_load_dword v31, v[32:33], off
	s_waitcnt vmcnt(1)
	v_subrev_nc_u32_e32 v30, s36, v30
	s_waitcnt vmcnt(0)
	v_subrev_nc_u32_e32 v31, s37, v31
	v_cmpx_eq_u32_e64 v30, v31
	s_cbranch_execz .LBB24_12
; %bb.16:                               ;   in Loop: Header=BB24_14 Depth=3
	v_lshlrev_b64 v[32:33], 3, v[5:6]
	v_lshlrev_b64 v[34:35], 3, v[15:16]
	v_add_co_u32 v32, s0, v24, v32
	v_add_co_ci_u32_e64 v33, null, v25, v33, s0
	v_add_co_u32 v34, s0, v28, v34
	v_add_co_ci_u32_e64 v35, null, v29, v35, s0
	global_load_dwordx2 v[32:33], v[32:33], off
	global_load_dwordx2 v[34:35], v[34:35], off
	s_waitcnt vmcnt(0)
	v_fma_f64 v[12:13], v[32:33], v[34:35], v[12:13]
	s_branch .LBB24_12
.LBB24_17:                              ;   in Loop: Header=BB24_10 Depth=2
	s_or_b32 exec_lo, exec_lo, s43
.LBB24_18:                              ;   in Loop: Header=BB24_10 Depth=2
	s_or_b32 exec_lo, exec_lo, s42
	s_mov_b32 s1, exec_lo
	v_cmpx_ge_i32_e64 v15, v26
	s_xor_b32 s1, exec_lo, s1
	s_cbranch_execnz .LBB24_21
; %bb.19:                               ;   in Loop: Header=BB24_10 Depth=2
	s_andn2_saveexec_b32 s1, s1
	s_cbranch_execnz .LBB24_30
.LBB24_20:                              ;   in Loop: Header=BB24_10 Depth=2
	s_or_b32 exec_lo, exec_lo, s1
	s_mov_b32 s1, exec_lo
	v_cmpx_eq_u32_e64 v1, v10
	s_cbranch_execz .LBB24_9
	s_branch .LBB24_37
.LBB24_21:                              ;   in Loop: Header=BB24_10 Depth=2
	s_mov_b32 s42, exec_lo
	v_cmpx_lt_i32_e64 v5, v21
	s_cbranch_execz .LBB24_29
; %bb.22:                               ;   in Loop: Header=BB24_10 Depth=2
	s_mov_b32 s43, 0
                                        ; implicit-def: $sgpr44
                                        ; implicit-def: $sgpr46
                                        ; implicit-def: $sgpr45
	s_inst_prefetch 0x1
	s_branch .LBB24_24
	.p2align	6
.LBB24_23:                              ;   in Loop: Header=BB24_24 Depth=3
	s_or_b32 exec_lo, exec_lo, s47
	s_and_b32 s0, exec_lo, s46
	s_or_b32 s43, s0, s43
	s_andn2_b32 s0, s44, exec_lo
	s_and_b32 s44, s45, exec_lo
	s_or_b32 s44, s0, s44
	s_andn2_b32 exec_lo, exec_lo, s43
	s_cbranch_execz .LBB24_26
.LBB24_24:                              ;   Parent Loop BB24_6 Depth=1
                                        ;     Parent Loop BB24_10 Depth=2
                                        ; =>    This Inner Loop Header: Depth=3
	v_add_nc_u32_e32 v14, v9, v5
	s_or_b32 s45, s45, exec_lo
	s_or_b32 s46, s46, exec_lo
	s_mov_b32 s47, exec_lo
	v_ashrrev_i32_e32 v15, 31, v14
	v_lshlrev_b64 v[16:17], 2, v[14:15]
	v_add_co_u32 v16, s0, s20, v16
	v_add_co_ci_u32_e64 v17, null, s21, v17, s0
	global_load_dword v16, v[16:17], off
	s_waitcnt vmcnt(0)
	v_subrev_nc_u32_e32 v16, s36, v16
	v_cmpx_ne_u32_e64 v16, v10
	s_cbranch_execz .LBB24_23
; %bb.25:                               ;   in Loop: Header=BB24_24 Depth=3
	v_add_nc_u32_e32 v5, 1, v5
	s_andn2_b32 s46, s46, exec_lo
	s_andn2_b32 s45, s45, exec_lo
	v_cmp_ge_i32_e64 s0, v5, v21
	s_and_b32 s0, s0, exec_lo
	s_or_b32 s46, s46, s0
	s_branch .LBB24_23
.LBB24_26:                              ;   in Loop: Header=BB24_10 Depth=2
	s_inst_prefetch 0x2
	s_or_b32 exec_lo, exec_lo, s43
	s_and_saveexec_b32 s0, s44
	s_xor_b32 s43, exec_lo, s0
	s_cbranch_execz .LBB24_28
; %bb.27:                               ;   in Loop: Header=BB24_10 Depth=2
	v_lshlrev_b64 v[14:15], 3, v[14:15]
	v_lshlrev_b64 v[16:17], 3, v[10:11]
	v_add_co_u32 v14, s0, s22, v14
	v_add_co_ci_u32_e64 v15, null, s23, v15, s0
	v_add_co_u32 v16, s0, s2, v16
	v_add_co_ci_u32_e64 v17, null, s3, v17, s0
	global_load_dwordx2 v[14:15], v[14:15], off
	global_load_dwordx2 v[16:17], v[16:17], off
	s_waitcnt vmcnt(0)
	v_fma_f64 v[12:13], v[14:15], v[16:17], v[12:13]
.LBB24_28:                              ;   in Loop: Header=BB24_10 Depth=2
	s_or_b32 exec_lo, exec_lo, s43
.LBB24_29:                              ;   in Loop: Header=BB24_10 Depth=2
	s_or_b32 exec_lo, exec_lo, s42
                                        ; implicit-def: $vgpr15
                                        ; implicit-def: $vgpr14
                                        ; implicit-def: $vgpr26
	s_andn2_saveexec_b32 s1, s1
	s_cbranch_execz .LBB24_20
.LBB24_30:                              ;   in Loop: Header=BB24_10 Depth=2
	s_mov_b32 s42, 0
                                        ; implicit-def: $sgpr43
                                        ; implicit-def: $sgpr45
                                        ; implicit-def: $sgpr44
	s_inst_prefetch 0x1
	s_branch .LBB24_32
	.p2align	6
.LBB24_31:                              ;   in Loop: Header=BB24_32 Depth=3
	s_or_b32 exec_lo, exec_lo, s46
	s_and_b32 s0, exec_lo, s45
	s_or_b32 s42, s0, s42
	s_andn2_b32 s0, s43, exec_lo
	s_and_b32 s43, s44, exec_lo
	s_or_b32 s43, s0, s43
	s_andn2_b32 exec_lo, exec_lo, s42
	s_cbranch_execz .LBB24_34
.LBB24_32:                              ;   Parent Loop BB24_6 Depth=1
                                        ;     Parent Loop BB24_10 Depth=2
                                        ; =>    This Inner Loop Header: Depth=3
	v_add_nc_u32_e32 v16, v14, v15
	s_or_b32 s44, s44, exec_lo
	s_or_b32 s45, s45, exec_lo
	s_mov_b32 s46, exec_lo
	v_ashrrev_i32_e32 v17, 31, v16
	v_lshlrev_b64 v[27:28], 2, v[16:17]
	v_add_co_u32 v27, s0, s12, v27
	v_add_co_ci_u32_e64 v28, null, s13, v28, s0
	global_load_dword v5, v[27:28], off
	s_waitcnt vmcnt(0)
	v_subrev_nc_u32_e32 v5, s37, v5
	v_cmpx_ne_u32_e64 v5, v1
	s_cbranch_execz .LBB24_31
; %bb.33:                               ;   in Loop: Header=BB24_32 Depth=3
	v_add_nc_u32_e32 v15, 1, v15
	s_andn2_b32 s45, s45, exec_lo
	s_andn2_b32 s44, s44, exec_lo
	v_cmp_ge_i32_e64 s0, v15, v26
	s_and_b32 s0, s0, exec_lo
	s_or_b32 s45, s45, s0
	s_branch .LBB24_31
.LBB24_34:                              ;   in Loop: Header=BB24_10 Depth=2
	s_inst_prefetch 0x2
	s_or_b32 exec_lo, exec_lo, s42
	s_and_saveexec_b32 s0, s43
	s_xor_b32 s42, exec_lo, s0
	s_cbranch_execz .LBB24_36
; %bb.35:                               ;   in Loop: Header=BB24_10 Depth=2
	v_lshlrev_b64 v[14:15], 3, v[16:17]
	v_add_co_u32 v14, s0, s14, v14
	v_add_co_ci_u32_e64 v15, null, s15, v15, s0
	global_load_dwordx2 v[14:15], v[14:15], off
	s_waitcnt vmcnt(0)
	v_add_f64 v[12:13], v[12:13], v[14:15]
.LBB24_36:                              ;   in Loop: Header=BB24_10 Depth=2
	s_or_b32 exec_lo, exec_lo, s42
	s_or_b32 exec_lo, exec_lo, s1
	s_mov_b32 s1, exec_lo
	v_cmpx_eq_u32_e64 v1, v10
	s_cbranch_execz .LBB24_9
.LBB24_37:                              ;   in Loop: Header=BB24_10 Depth=2
	v_lshlrev_b64 v[10:11], 3, v[10:11]
	v_add_co_u32 v10, s0, s2, v10
	v_add_co_ci_u32_e64 v11, null, s3, v11, s0
	global_load_dwordx2 v[10:11], v[10:11], off
	s_waitcnt vmcnt(0)
	v_add_f64 v[12:13], v[12:13], v[10:11]
	s_branch .LBB24_9
.LBB24_38:
	s_or_b32 exec_lo, exec_lo, s38
.LBB24_39:
	s_or_b32 exec_lo, exec_lo, s33
.LBB24_40:
	s_or_b32 exec_lo, exec_lo, s6
	v_mbcnt_lo_u32_b32 v5, -1, 0
	v_xor_b32_e32 v1, 4, v5
	v_xor_b32_e32 v6, 2, v5
	v_cmp_gt_i32_e32 vcc_lo, 32, v1
	v_cmp_gt_i32_e64 s0, 32, v6
	v_cndmask_b32_e32 v1, v5, v1, vcc_lo
	v_cndmask_b32_e64 v6, v5, v6, s0
	v_lshlrev_b32_e32 v2, 2, v1
	v_lshlrev_b32_e32 v6, 2, v6
	ds_bpermute_b32 v1, v2, v3
	ds_bpermute_b32 v2, v2, v4
	s_waitcnt lgkmcnt(0)
	v_cmp_lt_f64_e32 vcc_lo, v[3:4], v[1:2]
	v_cndmask_b32_e32 v2, v4, v2, vcc_lo
	v_cndmask_b32_e32 v1, v3, v1, vcc_lo
	ds_bpermute_b32 v4, v6, v2
	ds_bpermute_b32 v3, v6, v1
	v_xor_b32_e32 v6, 1, v5
	v_cmp_gt_i32_e64 s0, 32, v6
	v_cndmask_b32_e64 v5, v5, v6, s0
	s_mov_b32 s0, exec_lo
	v_lshlrev_b32_e32 v5, 2, v5
	s_waitcnt lgkmcnt(0)
	v_cmp_lt_f64_e32 vcc_lo, v[1:2], v[3:4]
	v_cndmask_b32_e32 v2, v2, v4, vcc_lo
	v_cndmask_b32_e32 v1, v1, v3, vcc_lo
	ds_bpermute_b32 v3, v5, v1
	ds_bpermute_b32 v5, v5, v2
	v_cmpx_eq_u32_e32 7, v19
	s_cbranch_execz .LBB24_42
; %bb.41:
	s_waitcnt lgkmcnt(0)
	v_mov_b32_e32 v4, v5
	v_cmp_lt_f64_e32 vcc_lo, v[1:2], v[3:4]
	v_lshlrev_b32_e32 v4, 3, v18
	v_cndmask_b32_e32 v2, v2, v5, vcc_lo
	v_cndmask_b32_e32 v1, v1, v3, vcc_lo
	ds_write_b64 v4, v[1:2]
.LBB24_42:
	s_or_b32 exec_lo, exec_lo, s0
	v_lshlrev_b32_e32 v1, 3, v0
	s_mov_b32 s0, exec_lo
	s_waitcnt lgkmcnt(0)
	s_barrier
	buffer_gl0_inv
	v_cmpx_gt_u32_e32 64, v0
	s_cbranch_execz .LBB24_44
; %bb.43:
	ds_read2st64_b64 v[2:5], v1 offset1:1
	s_waitcnt lgkmcnt(0)
	v_cmp_lt_f64_e32 vcc_lo, v[2:3], v[4:5]
	v_cndmask_b32_e32 v3, v3, v5, vcc_lo
	v_cndmask_b32_e32 v2, v2, v4, vcc_lo
	ds_write_b64 v1, v[2:3]
.LBB24_44:
	s_or_b32 exec_lo, exec_lo, s0
	s_mov_b32 s0, exec_lo
	s_waitcnt lgkmcnt(0)
	s_barrier
	buffer_gl0_inv
	v_cmpx_gt_u32_e32 32, v0
	s_cbranch_execz .LBB24_46
; %bb.45:
	ds_read2_b64 v[2:5], v1 offset1:32
	s_waitcnt lgkmcnt(0)
	v_cmp_lt_f64_e32 vcc_lo, v[2:3], v[4:5]
	v_cndmask_b32_e32 v3, v3, v5, vcc_lo
	v_cndmask_b32_e32 v2, v2, v4, vcc_lo
	ds_write_b64 v1, v[2:3]
.LBB24_46:
	s_or_b32 exec_lo, exec_lo, s0
	s_mov_b32 s0, exec_lo
	s_waitcnt lgkmcnt(0)
	s_barrier
	buffer_gl0_inv
	v_cmpx_gt_u32_e32 16, v0
	s_cbranch_execz .LBB24_48
; %bb.47:
	ds_read2_b64 v[2:5], v1 offset1:16
	s_waitcnt lgkmcnt(0)
	v_cmp_lt_f64_e32 vcc_lo, v[2:3], v[4:5]
	v_cndmask_b32_e32 v3, v3, v5, vcc_lo
	v_cndmask_b32_e32 v2, v2, v4, vcc_lo
	ds_write_b64 v1, v[2:3]
.LBB24_48:
	;; [unrolled: 15-line block ×5, first 2 shown]
	s_or_b32 exec_lo, exec_lo, s0
	v_cmp_eq_u32_e32 vcc_lo, 0, v0
	s_waitcnt lgkmcnt(0)
	s_barrier
	buffer_gl0_inv
	s_and_saveexec_b32 s1, vcc_lo
	s_cbranch_execz .LBB24_56
; %bb.55:
	v_mov_b32_e32 v4, 0
	ds_read_b128 v[0:3], v4
	s_waitcnt lgkmcnt(0)
	v_cmp_lt_f64_e64 s0, v[0:1], v[2:3]
	v_cndmask_b32_e64 v1, v1, v3, s0
	v_cndmask_b32_e64 v0, v0, v2, s0
	ds_write_b64 v4, v[0:1]
.LBB24_56:
	s_or_b32 exec_lo, exec_lo, s1
	s_waitcnt lgkmcnt(0)
	s_barrier
	buffer_gl0_inv
	s_and_saveexec_b32 s0, vcc_lo
	s_cbranch_execz .LBB24_60
; %bb.57:
	v_mbcnt_lo_u32_b32 v0, exec_lo, 0
	s_mov_b32 s6, 0
	v_cmp_eq_u32_e32 vcc_lo, 0, v0
	s_and_b32 exec_lo, exec_lo, vcc_lo
	s_cbranch_execz .LBB24_60
; %bb.58:
	s_load_dwordx4 s[0:3], s[4:5], 0x88
	v_mov_b32_e32 v6, 0
	ds_read_b64 v[0:1], v6
	s_waitcnt lgkmcnt(0)
	s_load_dwordx2 s[2:3], s[2:3], 0x0
	s_waitcnt lgkmcnt(0)
	v_div_scale_f64 v[2:3], null, s[2:3], s[2:3], v[0:1]
	v_rcp_f64_e32 v[4:5], v[2:3]
	v_fma_f64 v[7:8], -v[2:3], v[4:5], 1.0
	v_fma_f64 v[4:5], v[4:5], v[7:8], v[4:5]
	v_fma_f64 v[7:8], -v[2:3], v[4:5], 1.0
	v_fma_f64 v[4:5], v[4:5], v[7:8], v[4:5]
	v_div_scale_f64 v[7:8], vcc_lo, v[0:1], s[2:3], v[0:1]
	v_mul_f64 v[9:10], v[7:8], v[4:5]
	v_fma_f64 v[2:3], -v[2:3], v[9:10], v[7:8]
	v_div_fmas_f64 v[2:3], v[2:3], v[4:5], v[9:10]
	v_div_fixup_f64 v[0:1], v[2:3], s[2:3], v[0:1]
	s_load_dwordx2 s[2:3], s[0:1], 0x0
	s_waitcnt lgkmcnt(0)
	v_mov_b32_e32 v2, s2
	v_max_f64 v[4:5], v[0:1], v[0:1]
	v_mov_b32_e32 v3, s3
.LBB24_59:                              ; =>This Inner Loop Header: Depth=1
	v_max_f64 v[0:1], v[2:3], v[2:3]
	v_max_f64 v[0:1], v[0:1], v[4:5]
	global_atomic_cmpswap_x2 v[0:1], v6, v[0:3], s[0:1] glc
	s_waitcnt vmcnt(0)
	v_cmp_eq_u64_e32 vcc_lo, v[0:1], v[2:3]
	v_mov_b32_e32 v3, v1
	v_mov_b32_e32 v2, v0
	s_or_b32 s6, vcc_lo, s6
	s_andn2_b32 exec_lo, exec_lo, s6
	s_cbranch_execnz .LBB24_59
.LBB24_60:
	s_endpgm
	.section	.rodata,"a",@progbits
	.p2align	6, 0x0
	.amdhsa_kernel _ZN9rocsparseL19kernel_nrm_residualILi1024ELi8EdiiEEvT3_T2_PKS2_S4_PKS1_PKT1_21rocsparse_index_base_S4_S4_S6_S9_SA_S4_S4_S6_S9_SA_S9_PNS_15floating_traitsIS7_E6data_tEPKSD_
		.amdhsa_group_segment_fixed_size 1024
		.amdhsa_private_segment_fixed_size 0
		.amdhsa_kernarg_size 152
		.amdhsa_user_sgpr_count 6
		.amdhsa_user_sgpr_private_segment_buffer 1
		.amdhsa_user_sgpr_dispatch_ptr 0
		.amdhsa_user_sgpr_queue_ptr 0
		.amdhsa_user_sgpr_kernarg_segment_ptr 1
		.amdhsa_user_sgpr_dispatch_id 0
		.amdhsa_user_sgpr_flat_scratch_init 0
		.amdhsa_user_sgpr_private_segment_size 0
		.amdhsa_wavefront_size32 1
		.amdhsa_uses_dynamic_stack 0
		.amdhsa_system_sgpr_private_segment_wavefront_offset 0
		.amdhsa_system_sgpr_workgroup_id_x 1
		.amdhsa_system_sgpr_workgroup_id_y 0
		.amdhsa_system_sgpr_workgroup_id_z 0
		.amdhsa_system_sgpr_workgroup_info 0
		.amdhsa_system_vgpr_workitem_id 0
		.amdhsa_next_free_vgpr 36
		.amdhsa_next_free_sgpr 48
		.amdhsa_reserve_vcc 1
		.amdhsa_reserve_flat_scratch 0
		.amdhsa_float_round_mode_32 0
		.amdhsa_float_round_mode_16_64 0
		.amdhsa_float_denorm_mode_32 3
		.amdhsa_float_denorm_mode_16_64 3
		.amdhsa_dx10_clamp 1
		.amdhsa_ieee_mode 1
		.amdhsa_fp16_overflow 0
		.amdhsa_workgroup_processor_mode 1
		.amdhsa_memory_ordered 1
		.amdhsa_forward_progress 1
		.amdhsa_shared_vgpr_count 0
		.amdhsa_exception_fp_ieee_invalid_op 0
		.amdhsa_exception_fp_denorm_src 0
		.amdhsa_exception_fp_ieee_div_zero 0
		.amdhsa_exception_fp_ieee_overflow 0
		.amdhsa_exception_fp_ieee_underflow 0
		.amdhsa_exception_fp_ieee_inexact 0
		.amdhsa_exception_int_div_zero 0
	.end_amdhsa_kernel
	.section	.text._ZN9rocsparseL19kernel_nrm_residualILi1024ELi8EdiiEEvT3_T2_PKS2_S4_PKS1_PKT1_21rocsparse_index_base_S4_S4_S6_S9_SA_S4_S4_S6_S9_SA_S9_PNS_15floating_traitsIS7_E6data_tEPKSD_,"axG",@progbits,_ZN9rocsparseL19kernel_nrm_residualILi1024ELi8EdiiEEvT3_T2_PKS2_S4_PKS1_PKT1_21rocsparse_index_base_S4_S4_S6_S9_SA_S4_S4_S6_S9_SA_S9_PNS_15floating_traitsIS7_E6data_tEPKSD_,comdat
.Lfunc_end24:
	.size	_ZN9rocsparseL19kernel_nrm_residualILi1024ELi8EdiiEEvT3_T2_PKS2_S4_PKS1_PKT1_21rocsparse_index_base_S4_S4_S6_S9_SA_S4_S4_S6_S9_SA_S9_PNS_15floating_traitsIS7_E6data_tEPKSD_, .Lfunc_end24-_ZN9rocsparseL19kernel_nrm_residualILi1024ELi8EdiiEEvT3_T2_PKS2_S4_PKS1_PKT1_21rocsparse_index_base_S4_S4_S6_S9_SA_S4_S4_S6_S9_SA_S9_PNS_15floating_traitsIS7_E6data_tEPKSD_
                                        ; -- End function
	.set _ZN9rocsparseL19kernel_nrm_residualILi1024ELi8EdiiEEvT3_T2_PKS2_S4_PKS1_PKT1_21rocsparse_index_base_S4_S4_S6_S9_SA_S4_S4_S6_S9_SA_S9_PNS_15floating_traitsIS7_E6data_tEPKSD_.num_vgpr, 36
	.set _ZN9rocsparseL19kernel_nrm_residualILi1024ELi8EdiiEEvT3_T2_PKS2_S4_PKS1_PKT1_21rocsparse_index_base_S4_S4_S6_S9_SA_S4_S4_S6_S9_SA_S9_PNS_15floating_traitsIS7_E6data_tEPKSD_.num_agpr, 0
	.set _ZN9rocsparseL19kernel_nrm_residualILi1024ELi8EdiiEEvT3_T2_PKS2_S4_PKS1_PKT1_21rocsparse_index_base_S4_S4_S6_S9_SA_S4_S4_S6_S9_SA_S9_PNS_15floating_traitsIS7_E6data_tEPKSD_.numbered_sgpr, 48
	.set _ZN9rocsparseL19kernel_nrm_residualILi1024ELi8EdiiEEvT3_T2_PKS2_S4_PKS1_PKT1_21rocsparse_index_base_S4_S4_S6_S9_SA_S4_S4_S6_S9_SA_S9_PNS_15floating_traitsIS7_E6data_tEPKSD_.num_named_barrier, 0
	.set _ZN9rocsparseL19kernel_nrm_residualILi1024ELi8EdiiEEvT3_T2_PKS2_S4_PKS1_PKT1_21rocsparse_index_base_S4_S4_S6_S9_SA_S4_S4_S6_S9_SA_S9_PNS_15floating_traitsIS7_E6data_tEPKSD_.private_seg_size, 0
	.set _ZN9rocsparseL19kernel_nrm_residualILi1024ELi8EdiiEEvT3_T2_PKS2_S4_PKS1_PKT1_21rocsparse_index_base_S4_S4_S6_S9_SA_S4_S4_S6_S9_SA_S9_PNS_15floating_traitsIS7_E6data_tEPKSD_.uses_vcc, 1
	.set _ZN9rocsparseL19kernel_nrm_residualILi1024ELi8EdiiEEvT3_T2_PKS2_S4_PKS1_PKT1_21rocsparse_index_base_S4_S4_S6_S9_SA_S4_S4_S6_S9_SA_S9_PNS_15floating_traitsIS7_E6data_tEPKSD_.uses_flat_scratch, 0
	.set _ZN9rocsparseL19kernel_nrm_residualILi1024ELi8EdiiEEvT3_T2_PKS2_S4_PKS1_PKT1_21rocsparse_index_base_S4_S4_S6_S9_SA_S4_S4_S6_S9_SA_S9_PNS_15floating_traitsIS7_E6data_tEPKSD_.has_dyn_sized_stack, 0
	.set _ZN9rocsparseL19kernel_nrm_residualILi1024ELi8EdiiEEvT3_T2_PKS2_S4_PKS1_PKT1_21rocsparse_index_base_S4_S4_S6_S9_SA_S4_S4_S6_S9_SA_S9_PNS_15floating_traitsIS7_E6data_tEPKSD_.has_recursion, 0
	.set _ZN9rocsparseL19kernel_nrm_residualILi1024ELi8EdiiEEvT3_T2_PKS2_S4_PKS1_PKT1_21rocsparse_index_base_S4_S4_S6_S9_SA_S4_S4_S6_S9_SA_S9_PNS_15floating_traitsIS7_E6data_tEPKSD_.has_indirect_call, 0
	.section	.AMDGPU.csdata,"",@progbits
; Kernel info:
; codeLenInByte = 2676
; TotalNumSgprs: 50
; NumVgprs: 36
; ScratchSize: 0
; MemoryBound: 1
; FloatMode: 240
; IeeeMode: 1
; LDSByteSize: 1024 bytes/workgroup (compile time only)
; SGPRBlocks: 0
; VGPRBlocks: 4
; NumSGPRsForWavesPerEU: 50
; NumVGPRsForWavesPerEU: 36
; Occupancy: 16
; WaveLimiterHint : 1
; COMPUTE_PGM_RSRC2:SCRATCH_EN: 0
; COMPUTE_PGM_RSRC2:USER_SGPR: 6
; COMPUTE_PGM_RSRC2:TRAP_HANDLER: 0
; COMPUTE_PGM_RSRC2:TGID_X_EN: 1
; COMPUTE_PGM_RSRC2:TGID_Y_EN: 0
; COMPUTE_PGM_RSRC2:TGID_Z_EN: 0
; COMPUTE_PGM_RSRC2:TIDIG_COMP_CNT: 0
	.section	.text._ZN9rocsparseL19kernel_nrm_residualILi1024ELi16EdiiEEvT3_T2_PKS2_S4_PKS1_PKT1_21rocsparse_index_base_S4_S4_S6_S9_SA_S4_S4_S6_S9_SA_S9_PNS_15floating_traitsIS7_E6data_tEPKSD_,"axG",@progbits,_ZN9rocsparseL19kernel_nrm_residualILi1024ELi16EdiiEEvT3_T2_PKS2_S4_PKS1_PKT1_21rocsparse_index_base_S4_S4_S6_S9_SA_S4_S4_S6_S9_SA_S9_PNS_15floating_traitsIS7_E6data_tEPKSD_,comdat
	.globl	_ZN9rocsparseL19kernel_nrm_residualILi1024ELi16EdiiEEvT3_T2_PKS2_S4_PKS1_PKT1_21rocsparse_index_base_S4_S4_S6_S9_SA_S4_S4_S6_S9_SA_S9_PNS_15floating_traitsIS7_E6data_tEPKSD_ ; -- Begin function _ZN9rocsparseL19kernel_nrm_residualILi1024ELi16EdiiEEvT3_T2_PKS2_S4_PKS1_PKT1_21rocsparse_index_base_S4_S4_S6_S9_SA_S4_S4_S6_S9_SA_S9_PNS_15floating_traitsIS7_E6data_tEPKSD_
	.p2align	8
	.type	_ZN9rocsparseL19kernel_nrm_residualILi1024ELi16EdiiEEvT3_T2_PKS2_S4_PKS1_PKT1_21rocsparse_index_base_S4_S4_S6_S9_SA_S4_S4_S6_S9_SA_S9_PNS_15floating_traitsIS7_E6data_tEPKSD_,@function
_ZN9rocsparseL19kernel_nrm_residualILi1024ELi16EdiiEEvT3_T2_PKS2_S4_PKS1_PKT1_21rocsparse_index_base_S4_S4_S6_S9_SA_S4_S4_S6_S9_SA_S9_PNS_15floating_traitsIS7_E6data_tEPKSD_: ; @_ZN9rocsparseL19kernel_nrm_residualILi1024ELi16EdiiEEvT3_T2_PKS2_S4_PKS1_PKT1_21rocsparse_index_base_S4_S4_S6_S9_SA_S4_S4_S6_S9_SA_S9_PNS_15floating_traitsIS7_E6data_tEPKSD_
; %bb.0:
	s_load_dword s7, s[4:5], 0x0
	v_lshrrev_b32_e32 v18, 4, v0
	s_lshl_b32 s34, s6, 10
	v_mov_b32_e32 v3, 0
	v_and_b32_e32 v19, 15, v0
	v_mov_b32_e32 v4, 0
	v_or_b32_e32 v1, s34, v18
	s_mov_b32 s6, exec_lo
	s_waitcnt lgkmcnt(0)
	v_cmpx_gt_i32_e64 s7, v1
	s_cbranch_execz .LBB25_40
; %bb.1:
	v_mov_b32_e32 v3, 0
	v_mov_b32_e32 v4, 0
	s_addk_i32 s34, 0x400
	s_mov_b32 s33, exec_lo
	v_cmpx_gt_u32_e64 s34, v1
	s_cbranch_execz .LBB25_39
; %bb.2:
	s_clause 0x6
	s_load_dword s35, s[4:5], 0x28
	s_load_dwordx8 s[8:15], s[4:5], 0x58
	s_load_dwordx8 s[16:23], s[4:5], 0x30
	;; [unrolled: 1-line block ×3, first 2 shown]
	s_load_dword s36, s[4:5], 0x50
	s_load_dwordx2 s[2:3], s[4:5], 0x80
	s_load_dword s37, s[4:5], 0x78
	v_mov_b32_e32 v3, 0
	v_mov_b32_e32 v4, 0
	;; [unrolled: 1-line block ×3, first 2 shown]
	s_mov_b32 s38, 0
	s_waitcnt lgkmcnt(0)
	v_subrev_nc_u32_e32 v20, s35, v19
	s_branch .LBB25_6
.LBB25_3:                               ;   in Loop: Header=BB25_6 Depth=1
	s_or_b32 exec_lo, exec_lo, s41
.LBB25_4:                               ;   in Loop: Header=BB25_6 Depth=1
	s_or_b32 exec_lo, exec_lo, s40
.LBB25_5:                               ;   in Loop: Header=BB25_6 Depth=1
	s_or_b32 exec_lo, exec_lo, s39
	v_add_nc_u32_e32 v1, 64, v1
	v_cmp_le_u32_e32 vcc_lo, s34, v1
	s_or_b32 s38, vcc_lo, s38
	s_andn2_b32 exec_lo, exec_lo, s38
	s_cbranch_execz .LBB25_38
.LBB25_6:                               ; =>This Loop Header: Depth=1
                                        ;     Child Loop BB25_10 Depth 2
                                        ;       Child Loop BB25_14 Depth 3
                                        ;       Child Loop BB25_24 Depth 3
	;; [unrolled: 1-line block ×3, first 2 shown]
	s_mov_b32 s39, exec_lo
	v_cmpx_gt_i32_e64 s7, v1
	s_cbranch_execz .LBB25_5
; %bb.7:                                ;   in Loop: Header=BB25_6 Depth=1
	v_ashrrev_i32_e32 v2, 31, v1
	s_mov_b32 s40, exec_lo
	v_lshlrev_b64 v[8:9], 2, v[1:2]
	v_add_co_u32 v10, vcc_lo, s24, v8
	v_add_co_ci_u32_e64 v11, null, s25, v9, vcc_lo
	v_add_co_u32 v12, vcc_lo, s26, v8
	v_add_co_ci_u32_e64 v13, null, s27, v9, vcc_lo
	global_load_dword v2, v[10:11], off
	global_load_dword v5, v[12:13], off
	s_waitcnt vmcnt(1)
	v_add_nc_u32_e32 v7, v20, v2
	s_waitcnt vmcnt(0)
	v_subrev_nc_u32_e32 v2, s35, v5
	v_cmpx_lt_i32_e64 v7, v2
	s_cbranch_execz .LBB25_4
; %bb.8:                                ;   in Loop: Header=BB25_6 Depth=1
	v_add_co_u32 v10, vcc_lo, s16, v8
	v_add_co_ci_u32_e64 v11, null, s17, v9, vcc_lo
	v_add_co_u32 v8, vcc_lo, s18, v8
	v_add_co_ci_u32_e64 v9, null, s19, v9, vcc_lo
	global_load_dword v5, v[10:11], off
	s_mov_b32 s41, 0
	global_load_dword v8, v[8:9], off
	s_waitcnt vmcnt(1)
	v_subrev_nc_u32_e32 v9, s36, v5
	s_waitcnt vmcnt(0)
	v_sub_nc_u32_e32 v21, v8, v5
	v_ashrrev_i32_e32 v10, 31, v9
	v_lshlrev_b64 v[11:12], 2, v[9:10]
	v_lshlrev_b64 v[13:14], 3, v[9:10]
	v_add_co_u32 v22, vcc_lo, s20, v11
	v_add_co_ci_u32_e64 v23, null, s21, v12, vcc_lo
	v_add_co_u32 v24, vcc_lo, s22, v13
	v_add_co_ci_u32_e64 v25, null, s23, v14, vcc_lo
	v_cmp_lt_i32_e32 vcc_lo, 0, v21
	s_branch .LBB25_10
.LBB25_9:                               ;   in Loop: Header=BB25_10 Depth=2
	s_or_b32 exec_lo, exec_lo, s1
	v_lshlrev_b64 v[10:11], 3, v[7:8]
	v_add_nc_u32_e32 v7, 16, v7
	v_add_co_u32 v10, s0, s30, v10
	v_add_co_ci_u32_e64 v11, null, s31, v11, s0
	v_cmp_ge_i32_e64 s0, v7, v2
	global_load_dwordx2 v[10:11], v[10:11], off
	s_waitcnt vmcnt(0)
	v_add_f64 v[10:11], v[10:11], -v[12:13]
	v_cmp_nlg_f64_e64 s1, 0x7ff00000, |v[10:11]|
	v_cmp_gt_f64_e64 s42, v[3:4], |v[10:11]|
	v_and_b32_e32 v5, 0x7fffffff, v11
	s_or_b32 s1, s1, s42
	s_or_b32 s41, s0, s41
	v_cndmask_b32_e64 v4, v5, v4, s1
	v_cndmask_b32_e64 v3, v10, v3, s1
	s_andn2_b32 exec_lo, exec_lo, s41
	s_cbranch_execz .LBB25_3
.LBB25_10:                              ;   Parent Loop BB25_6 Depth=1
                                        ; =>  This Loop Header: Depth=2
                                        ;       Child Loop BB25_14 Depth 3
                                        ;       Child Loop BB25_24 Depth 3
	;; [unrolled: 1-line block ×3, first 2 shown]
	v_ashrrev_i32_e32 v8, 31, v7
	v_lshlrev_b64 v[10:11], 2, v[7:8]
	v_add_co_u32 v10, s0, s28, v10
	v_add_co_ci_u32_e64 v11, null, s29, v11, s0
	global_load_dword v5, v[10:11], off
	s_waitcnt vmcnt(0)
	v_subrev_nc_u32_e32 v10, s35, v5
	v_ashrrev_i32_e32 v11, 31, v10
	v_lshlrev_b64 v[12:13], 2, v[10:11]
	v_add_co_u32 v14, s0, s8, v12
	v_add_co_ci_u32_e64 v15, null, s9, v13, s0
	v_add_co_u32 v12, s0, s10, v12
	v_add_co_ci_u32_e64 v13, null, s11, v13, s0
	global_load_dword v5, v[14:15], off
	global_load_dword v16, v[12:13], off
	v_mov_b32_e32 v15, 0
	v_mov_b32_e32 v12, 0
	;; [unrolled: 1-line block ×3, first 2 shown]
	s_waitcnt vmcnt(1)
	v_subrev_nc_u32_e32 v14, s37, v5
	s_waitcnt vmcnt(0)
	v_sub_nc_u32_e32 v26, v16, v5
	v_mov_b32_e32 v5, v15
	s_and_saveexec_b32 s42, vcc_lo
	s_cbranch_execz .LBB25_18
; %bb.11:                               ;   in Loop: Header=BB25_10 Depth=2
	v_ashrrev_i32_e32 v15, 31, v14
	v_mov_b32_e32 v12, 0
	v_mov_b32_e32 v13, 0
	;; [unrolled: 1-line block ×3, first 2 shown]
	s_mov_b32 s43, 0
	v_lshlrev_b64 v[27:28], 2, v[14:15]
	v_lshlrev_b64 v[15:16], 3, v[14:15]
                                        ; implicit-def: $sgpr44
	v_add_co_u32 v17, s0, s12, v27
	v_add_co_ci_u32_e64 v27, null, s13, v28, s0
	v_add_co_u32 v28, s0, s14, v15
	v_add_co_ci_u32_e64 v29, null, s15, v16, s0
	v_mov_b32_e32 v15, 0
	s_branch .LBB25_14
.LBB25_12:                              ;   in Loop: Header=BB25_14 Depth=3
	s_or_b32 exec_lo, exec_lo, s1
	v_cmp_le_i32_e64 s0, v30, v31
	v_cmp_ge_i32_e64 s1, v30, v31
	v_add_co_ci_u32_e64 v5, null, 0, v5, s0
	v_add_co_ci_u32_e64 v15, null, 0, v15, s1
	s_andn2_b32 s1, s44, exec_lo
	v_cmp_ge_i32_e64 s0, v5, v21
	s_and_b32 s0, s0, exec_lo
	s_or_b32 s44, s1, s0
.LBB25_13:                              ;   in Loop: Header=BB25_14 Depth=3
	s_or_b32 exec_lo, exec_lo, s45
	s_and_b32 s0, exec_lo, s44
	s_or_b32 s43, s0, s43
	s_andn2_b32 exec_lo, exec_lo, s43
	s_cbranch_execz .LBB25_17
.LBB25_14:                              ;   Parent Loop BB25_6 Depth=1
                                        ;     Parent Loop BB25_10 Depth=2
                                        ; =>    This Inner Loop Header: Depth=3
	s_or_b32 s44, s44, exec_lo
	s_mov_b32 s45, exec_lo
	v_cmpx_lt_i32_e64 v15, v26
	s_cbranch_execz .LBB25_13
; %bb.15:                               ;   in Loop: Header=BB25_14 Depth=3
	v_mov_b32_e32 v16, v6
	v_lshlrev_b64 v[30:31], 2, v[5:6]
	s_mov_b32 s1, exec_lo
	v_lshlrev_b64 v[32:33], 2, v[15:16]
	v_add_co_u32 v30, s0, v22, v30
	v_add_co_ci_u32_e64 v31, null, v23, v31, s0
	v_add_co_u32 v32, s0, v17, v32
	v_add_co_ci_u32_e64 v33, null, v27, v33, s0
	global_load_dword v30, v[30:31], off
	global_load_dword v31, v[32:33], off
	s_waitcnt vmcnt(1)
	v_subrev_nc_u32_e32 v30, s36, v30
	s_waitcnt vmcnt(0)
	v_subrev_nc_u32_e32 v31, s37, v31
	v_cmpx_eq_u32_e64 v30, v31
	s_cbranch_execz .LBB25_12
; %bb.16:                               ;   in Loop: Header=BB25_14 Depth=3
	v_lshlrev_b64 v[32:33], 3, v[5:6]
	v_lshlrev_b64 v[34:35], 3, v[15:16]
	v_add_co_u32 v32, s0, v24, v32
	v_add_co_ci_u32_e64 v33, null, v25, v33, s0
	v_add_co_u32 v34, s0, v28, v34
	v_add_co_ci_u32_e64 v35, null, v29, v35, s0
	global_load_dwordx2 v[32:33], v[32:33], off
	global_load_dwordx2 v[34:35], v[34:35], off
	s_waitcnt vmcnt(0)
	v_fma_f64 v[12:13], v[32:33], v[34:35], v[12:13]
	s_branch .LBB25_12
.LBB25_17:                              ;   in Loop: Header=BB25_10 Depth=2
	s_or_b32 exec_lo, exec_lo, s43
.LBB25_18:                              ;   in Loop: Header=BB25_10 Depth=2
	s_or_b32 exec_lo, exec_lo, s42
	s_mov_b32 s1, exec_lo
	v_cmpx_ge_i32_e64 v15, v26
	s_xor_b32 s1, exec_lo, s1
	s_cbranch_execnz .LBB25_21
; %bb.19:                               ;   in Loop: Header=BB25_10 Depth=2
	s_andn2_saveexec_b32 s1, s1
	s_cbranch_execnz .LBB25_30
.LBB25_20:                              ;   in Loop: Header=BB25_10 Depth=2
	s_or_b32 exec_lo, exec_lo, s1
	s_mov_b32 s1, exec_lo
	v_cmpx_eq_u32_e64 v1, v10
	s_cbranch_execz .LBB25_9
	s_branch .LBB25_37
.LBB25_21:                              ;   in Loop: Header=BB25_10 Depth=2
	s_mov_b32 s42, exec_lo
	v_cmpx_lt_i32_e64 v5, v21
	s_cbranch_execz .LBB25_29
; %bb.22:                               ;   in Loop: Header=BB25_10 Depth=2
	s_mov_b32 s43, 0
                                        ; implicit-def: $sgpr44
                                        ; implicit-def: $sgpr46
                                        ; implicit-def: $sgpr45
	s_inst_prefetch 0x1
	s_branch .LBB25_24
	.p2align	6
.LBB25_23:                              ;   in Loop: Header=BB25_24 Depth=3
	s_or_b32 exec_lo, exec_lo, s47
	s_and_b32 s0, exec_lo, s46
	s_or_b32 s43, s0, s43
	s_andn2_b32 s0, s44, exec_lo
	s_and_b32 s44, s45, exec_lo
	s_or_b32 s44, s0, s44
	s_andn2_b32 exec_lo, exec_lo, s43
	s_cbranch_execz .LBB25_26
.LBB25_24:                              ;   Parent Loop BB25_6 Depth=1
                                        ;     Parent Loop BB25_10 Depth=2
                                        ; =>    This Inner Loop Header: Depth=3
	v_add_nc_u32_e32 v14, v9, v5
	s_or_b32 s45, s45, exec_lo
	s_or_b32 s46, s46, exec_lo
	s_mov_b32 s47, exec_lo
	v_ashrrev_i32_e32 v15, 31, v14
	v_lshlrev_b64 v[16:17], 2, v[14:15]
	v_add_co_u32 v16, s0, s20, v16
	v_add_co_ci_u32_e64 v17, null, s21, v17, s0
	global_load_dword v16, v[16:17], off
	s_waitcnt vmcnt(0)
	v_subrev_nc_u32_e32 v16, s36, v16
	v_cmpx_ne_u32_e64 v16, v10
	s_cbranch_execz .LBB25_23
; %bb.25:                               ;   in Loop: Header=BB25_24 Depth=3
	v_add_nc_u32_e32 v5, 1, v5
	s_andn2_b32 s46, s46, exec_lo
	s_andn2_b32 s45, s45, exec_lo
	v_cmp_ge_i32_e64 s0, v5, v21
	s_and_b32 s0, s0, exec_lo
	s_or_b32 s46, s46, s0
	s_branch .LBB25_23
.LBB25_26:                              ;   in Loop: Header=BB25_10 Depth=2
	s_inst_prefetch 0x2
	s_or_b32 exec_lo, exec_lo, s43
	s_and_saveexec_b32 s0, s44
	s_xor_b32 s43, exec_lo, s0
	s_cbranch_execz .LBB25_28
; %bb.27:                               ;   in Loop: Header=BB25_10 Depth=2
	v_lshlrev_b64 v[14:15], 3, v[14:15]
	v_lshlrev_b64 v[16:17], 3, v[10:11]
	v_add_co_u32 v14, s0, s22, v14
	v_add_co_ci_u32_e64 v15, null, s23, v15, s0
	v_add_co_u32 v16, s0, s2, v16
	v_add_co_ci_u32_e64 v17, null, s3, v17, s0
	global_load_dwordx2 v[14:15], v[14:15], off
	global_load_dwordx2 v[16:17], v[16:17], off
	s_waitcnt vmcnt(0)
	v_fma_f64 v[12:13], v[14:15], v[16:17], v[12:13]
.LBB25_28:                              ;   in Loop: Header=BB25_10 Depth=2
	s_or_b32 exec_lo, exec_lo, s43
.LBB25_29:                              ;   in Loop: Header=BB25_10 Depth=2
	s_or_b32 exec_lo, exec_lo, s42
                                        ; implicit-def: $vgpr15
                                        ; implicit-def: $vgpr14
                                        ; implicit-def: $vgpr26
	s_andn2_saveexec_b32 s1, s1
	s_cbranch_execz .LBB25_20
.LBB25_30:                              ;   in Loop: Header=BB25_10 Depth=2
	s_mov_b32 s42, 0
                                        ; implicit-def: $sgpr43
                                        ; implicit-def: $sgpr45
                                        ; implicit-def: $sgpr44
	s_inst_prefetch 0x1
	s_branch .LBB25_32
	.p2align	6
.LBB25_31:                              ;   in Loop: Header=BB25_32 Depth=3
	s_or_b32 exec_lo, exec_lo, s46
	s_and_b32 s0, exec_lo, s45
	s_or_b32 s42, s0, s42
	s_andn2_b32 s0, s43, exec_lo
	s_and_b32 s43, s44, exec_lo
	s_or_b32 s43, s0, s43
	s_andn2_b32 exec_lo, exec_lo, s42
	s_cbranch_execz .LBB25_34
.LBB25_32:                              ;   Parent Loop BB25_6 Depth=1
                                        ;     Parent Loop BB25_10 Depth=2
                                        ; =>    This Inner Loop Header: Depth=3
	v_add_nc_u32_e32 v16, v14, v15
	s_or_b32 s44, s44, exec_lo
	s_or_b32 s45, s45, exec_lo
	s_mov_b32 s46, exec_lo
	v_ashrrev_i32_e32 v17, 31, v16
	v_lshlrev_b64 v[27:28], 2, v[16:17]
	v_add_co_u32 v27, s0, s12, v27
	v_add_co_ci_u32_e64 v28, null, s13, v28, s0
	global_load_dword v5, v[27:28], off
	s_waitcnt vmcnt(0)
	v_subrev_nc_u32_e32 v5, s37, v5
	v_cmpx_ne_u32_e64 v5, v1
	s_cbranch_execz .LBB25_31
; %bb.33:                               ;   in Loop: Header=BB25_32 Depth=3
	v_add_nc_u32_e32 v15, 1, v15
	s_andn2_b32 s45, s45, exec_lo
	s_andn2_b32 s44, s44, exec_lo
	v_cmp_ge_i32_e64 s0, v15, v26
	s_and_b32 s0, s0, exec_lo
	s_or_b32 s45, s45, s0
	s_branch .LBB25_31
.LBB25_34:                              ;   in Loop: Header=BB25_10 Depth=2
	s_inst_prefetch 0x2
	s_or_b32 exec_lo, exec_lo, s42
	s_and_saveexec_b32 s0, s43
	s_xor_b32 s42, exec_lo, s0
	s_cbranch_execz .LBB25_36
; %bb.35:                               ;   in Loop: Header=BB25_10 Depth=2
	v_lshlrev_b64 v[14:15], 3, v[16:17]
	v_add_co_u32 v14, s0, s14, v14
	v_add_co_ci_u32_e64 v15, null, s15, v15, s0
	global_load_dwordx2 v[14:15], v[14:15], off
	s_waitcnt vmcnt(0)
	v_add_f64 v[12:13], v[12:13], v[14:15]
.LBB25_36:                              ;   in Loop: Header=BB25_10 Depth=2
	s_or_b32 exec_lo, exec_lo, s42
	s_or_b32 exec_lo, exec_lo, s1
	s_mov_b32 s1, exec_lo
	v_cmpx_eq_u32_e64 v1, v10
	s_cbranch_execz .LBB25_9
.LBB25_37:                              ;   in Loop: Header=BB25_10 Depth=2
	v_lshlrev_b64 v[10:11], 3, v[10:11]
	v_add_co_u32 v10, s0, s2, v10
	v_add_co_ci_u32_e64 v11, null, s3, v11, s0
	global_load_dwordx2 v[10:11], v[10:11], off
	s_waitcnt vmcnt(0)
	v_add_f64 v[12:13], v[12:13], v[10:11]
	s_branch .LBB25_9
.LBB25_38:
	s_or_b32 exec_lo, exec_lo, s38
.LBB25_39:
	s_or_b32 exec_lo, exec_lo, s33
.LBB25_40:
	s_or_b32 exec_lo, exec_lo, s6
	v_mbcnt_lo_u32_b32 v5, -1, 0
	v_xor_b32_e32 v1, 8, v5
	v_xor_b32_e32 v6, 4, v5
	v_cmp_gt_i32_e32 vcc_lo, 32, v1
	v_cmp_gt_i32_e64 s0, 32, v6
	v_cndmask_b32_e32 v1, v5, v1, vcc_lo
	v_cndmask_b32_e64 v6, v5, v6, s0
	v_lshlrev_b32_e32 v2, 2, v1
	v_lshlrev_b32_e32 v6, 2, v6
	ds_bpermute_b32 v1, v2, v3
	ds_bpermute_b32 v2, v2, v4
	s_waitcnt lgkmcnt(0)
	v_cmp_lt_f64_e32 vcc_lo, v[3:4], v[1:2]
	v_cndmask_b32_e32 v2, v4, v2, vcc_lo
	v_cndmask_b32_e32 v1, v3, v1, vcc_lo
	ds_bpermute_b32 v4, v6, v2
	ds_bpermute_b32 v3, v6, v1
	v_xor_b32_e32 v6, 2, v5
	v_cmp_gt_i32_e64 s0, 32, v6
	v_cndmask_b32_e64 v6, v5, v6, s0
	v_lshlrev_b32_e32 v6, 2, v6
	s_waitcnt lgkmcnt(0)
	v_cmp_lt_f64_e32 vcc_lo, v[1:2], v[3:4]
	v_cndmask_b32_e32 v2, v2, v4, vcc_lo
	v_cndmask_b32_e32 v1, v1, v3, vcc_lo
	ds_bpermute_b32 v4, v6, v2
	ds_bpermute_b32 v3, v6, v1
	v_xor_b32_e32 v6, 1, v5
	v_cmp_gt_i32_e64 s0, 32, v6
	v_cndmask_b32_e64 v5, v5, v6, s0
	s_mov_b32 s0, exec_lo
	v_lshlrev_b32_e32 v5, 2, v5
	s_waitcnt lgkmcnt(0)
	v_cmp_lt_f64_e32 vcc_lo, v[1:2], v[3:4]
	v_cndmask_b32_e32 v2, v2, v4, vcc_lo
	v_cndmask_b32_e32 v1, v1, v3, vcc_lo
	ds_bpermute_b32 v3, v5, v1
	ds_bpermute_b32 v5, v5, v2
	v_cmpx_eq_u32_e32 15, v19
	s_cbranch_execz .LBB25_42
; %bb.41:
	s_waitcnt lgkmcnt(0)
	v_mov_b32_e32 v4, v5
	v_cmp_lt_f64_e32 vcc_lo, v[1:2], v[3:4]
	v_lshlrev_b32_e32 v4, 3, v18
	v_cndmask_b32_e32 v2, v2, v5, vcc_lo
	v_cndmask_b32_e32 v1, v1, v3, vcc_lo
	ds_write_b64 v4, v[1:2]
.LBB25_42:
	s_or_b32 exec_lo, exec_lo, s0
	v_lshlrev_b32_e32 v1, 3, v0
	s_mov_b32 s0, exec_lo
	s_waitcnt lgkmcnt(0)
	s_barrier
	buffer_gl0_inv
	v_cmpx_gt_u32_e32 32, v0
	s_cbranch_execz .LBB25_44
; %bb.43:
	ds_read2_b64 v[2:5], v1 offset1:32
	s_waitcnt lgkmcnt(0)
	v_cmp_lt_f64_e32 vcc_lo, v[2:3], v[4:5]
	v_cndmask_b32_e32 v3, v3, v5, vcc_lo
	v_cndmask_b32_e32 v2, v2, v4, vcc_lo
	ds_write_b64 v1, v[2:3]
.LBB25_44:
	s_or_b32 exec_lo, exec_lo, s0
	s_mov_b32 s0, exec_lo
	s_waitcnt lgkmcnt(0)
	s_barrier
	buffer_gl0_inv
	v_cmpx_gt_u32_e32 16, v0
	s_cbranch_execz .LBB25_46
; %bb.45:
	ds_read2_b64 v[2:5], v1 offset1:16
	s_waitcnt lgkmcnt(0)
	v_cmp_lt_f64_e32 vcc_lo, v[2:3], v[4:5]
	v_cndmask_b32_e32 v3, v3, v5, vcc_lo
	v_cndmask_b32_e32 v2, v2, v4, vcc_lo
	ds_write_b64 v1, v[2:3]
.LBB25_46:
	s_or_b32 exec_lo, exec_lo, s0
	;; [unrolled: 15-line block ×5, first 2 shown]
	v_cmp_eq_u32_e32 vcc_lo, 0, v0
	s_waitcnt lgkmcnt(0)
	s_barrier
	buffer_gl0_inv
	s_and_saveexec_b32 s1, vcc_lo
	s_cbranch_execz .LBB25_54
; %bb.53:
	v_mov_b32_e32 v4, 0
	ds_read_b128 v[0:3], v4
	s_waitcnt lgkmcnt(0)
	v_cmp_lt_f64_e64 s0, v[0:1], v[2:3]
	v_cndmask_b32_e64 v1, v1, v3, s0
	v_cndmask_b32_e64 v0, v0, v2, s0
	ds_write_b64 v4, v[0:1]
.LBB25_54:
	s_or_b32 exec_lo, exec_lo, s1
	s_waitcnt lgkmcnt(0)
	s_barrier
	buffer_gl0_inv
	s_and_saveexec_b32 s0, vcc_lo
	s_cbranch_execz .LBB25_58
; %bb.55:
	v_mbcnt_lo_u32_b32 v0, exec_lo, 0
	s_mov_b32 s6, 0
	v_cmp_eq_u32_e32 vcc_lo, 0, v0
	s_and_b32 exec_lo, exec_lo, vcc_lo
	s_cbranch_execz .LBB25_58
; %bb.56:
	s_load_dwordx4 s[0:3], s[4:5], 0x88
	v_mov_b32_e32 v6, 0
	ds_read_b64 v[0:1], v6
	s_waitcnt lgkmcnt(0)
	s_load_dwordx2 s[2:3], s[2:3], 0x0
	s_waitcnt lgkmcnt(0)
	v_div_scale_f64 v[2:3], null, s[2:3], s[2:3], v[0:1]
	v_rcp_f64_e32 v[4:5], v[2:3]
	v_fma_f64 v[7:8], -v[2:3], v[4:5], 1.0
	v_fma_f64 v[4:5], v[4:5], v[7:8], v[4:5]
	v_fma_f64 v[7:8], -v[2:3], v[4:5], 1.0
	v_fma_f64 v[4:5], v[4:5], v[7:8], v[4:5]
	v_div_scale_f64 v[7:8], vcc_lo, v[0:1], s[2:3], v[0:1]
	v_mul_f64 v[9:10], v[7:8], v[4:5]
	v_fma_f64 v[2:3], -v[2:3], v[9:10], v[7:8]
	v_div_fmas_f64 v[2:3], v[2:3], v[4:5], v[9:10]
	v_div_fixup_f64 v[0:1], v[2:3], s[2:3], v[0:1]
	s_load_dwordx2 s[2:3], s[0:1], 0x0
	s_waitcnt lgkmcnt(0)
	v_mov_b32_e32 v2, s2
	v_max_f64 v[4:5], v[0:1], v[0:1]
	v_mov_b32_e32 v3, s3
.LBB25_57:                              ; =>This Inner Loop Header: Depth=1
	v_max_f64 v[0:1], v[2:3], v[2:3]
	v_max_f64 v[0:1], v[0:1], v[4:5]
	global_atomic_cmpswap_x2 v[0:1], v6, v[0:3], s[0:1] glc
	s_waitcnt vmcnt(0)
	v_cmp_eq_u64_e32 vcc_lo, v[0:1], v[2:3]
	v_mov_b32_e32 v3, v1
	v_mov_b32_e32 v2, v0
	s_or_b32 s6, vcc_lo, s6
	s_andn2_b32 exec_lo, exec_lo, s6
	s_cbranch_execnz .LBB25_57
.LBB25_58:
	s_endpgm
	.section	.rodata,"a",@progbits
	.p2align	6, 0x0
	.amdhsa_kernel _ZN9rocsparseL19kernel_nrm_residualILi1024ELi16EdiiEEvT3_T2_PKS2_S4_PKS1_PKT1_21rocsparse_index_base_S4_S4_S6_S9_SA_S4_S4_S6_S9_SA_S9_PNS_15floating_traitsIS7_E6data_tEPKSD_
		.amdhsa_group_segment_fixed_size 512
		.amdhsa_private_segment_fixed_size 0
		.amdhsa_kernarg_size 152
		.amdhsa_user_sgpr_count 6
		.amdhsa_user_sgpr_private_segment_buffer 1
		.amdhsa_user_sgpr_dispatch_ptr 0
		.amdhsa_user_sgpr_queue_ptr 0
		.amdhsa_user_sgpr_kernarg_segment_ptr 1
		.amdhsa_user_sgpr_dispatch_id 0
		.amdhsa_user_sgpr_flat_scratch_init 0
		.amdhsa_user_sgpr_private_segment_size 0
		.amdhsa_wavefront_size32 1
		.amdhsa_uses_dynamic_stack 0
		.amdhsa_system_sgpr_private_segment_wavefront_offset 0
		.amdhsa_system_sgpr_workgroup_id_x 1
		.amdhsa_system_sgpr_workgroup_id_y 0
		.amdhsa_system_sgpr_workgroup_id_z 0
		.amdhsa_system_sgpr_workgroup_info 0
		.amdhsa_system_vgpr_workitem_id 0
		.amdhsa_next_free_vgpr 36
		.amdhsa_next_free_sgpr 48
		.amdhsa_reserve_vcc 1
		.amdhsa_reserve_flat_scratch 0
		.amdhsa_float_round_mode_32 0
		.amdhsa_float_round_mode_16_64 0
		.amdhsa_float_denorm_mode_32 3
		.amdhsa_float_denorm_mode_16_64 3
		.amdhsa_dx10_clamp 1
		.amdhsa_ieee_mode 1
		.amdhsa_fp16_overflow 0
		.amdhsa_workgroup_processor_mode 1
		.amdhsa_memory_ordered 1
		.amdhsa_forward_progress 1
		.amdhsa_shared_vgpr_count 0
		.amdhsa_exception_fp_ieee_invalid_op 0
		.amdhsa_exception_fp_denorm_src 0
		.amdhsa_exception_fp_ieee_div_zero 0
		.amdhsa_exception_fp_ieee_overflow 0
		.amdhsa_exception_fp_ieee_underflow 0
		.amdhsa_exception_fp_ieee_inexact 0
		.amdhsa_exception_int_div_zero 0
	.end_amdhsa_kernel
	.section	.text._ZN9rocsparseL19kernel_nrm_residualILi1024ELi16EdiiEEvT3_T2_PKS2_S4_PKS1_PKT1_21rocsparse_index_base_S4_S4_S6_S9_SA_S4_S4_S6_S9_SA_S9_PNS_15floating_traitsIS7_E6data_tEPKSD_,"axG",@progbits,_ZN9rocsparseL19kernel_nrm_residualILi1024ELi16EdiiEEvT3_T2_PKS2_S4_PKS1_PKT1_21rocsparse_index_base_S4_S4_S6_S9_SA_S4_S4_S6_S9_SA_S9_PNS_15floating_traitsIS7_E6data_tEPKSD_,comdat
.Lfunc_end25:
	.size	_ZN9rocsparseL19kernel_nrm_residualILi1024ELi16EdiiEEvT3_T2_PKS2_S4_PKS1_PKT1_21rocsparse_index_base_S4_S4_S6_S9_SA_S4_S4_S6_S9_SA_S9_PNS_15floating_traitsIS7_E6data_tEPKSD_, .Lfunc_end25-_ZN9rocsparseL19kernel_nrm_residualILi1024ELi16EdiiEEvT3_T2_PKS2_S4_PKS1_PKT1_21rocsparse_index_base_S4_S4_S6_S9_SA_S4_S4_S6_S9_SA_S9_PNS_15floating_traitsIS7_E6data_tEPKSD_
                                        ; -- End function
	.set _ZN9rocsparseL19kernel_nrm_residualILi1024ELi16EdiiEEvT3_T2_PKS2_S4_PKS1_PKT1_21rocsparse_index_base_S4_S4_S6_S9_SA_S4_S4_S6_S9_SA_S9_PNS_15floating_traitsIS7_E6data_tEPKSD_.num_vgpr, 36
	.set _ZN9rocsparseL19kernel_nrm_residualILi1024ELi16EdiiEEvT3_T2_PKS2_S4_PKS1_PKT1_21rocsparse_index_base_S4_S4_S6_S9_SA_S4_S4_S6_S9_SA_S9_PNS_15floating_traitsIS7_E6data_tEPKSD_.num_agpr, 0
	.set _ZN9rocsparseL19kernel_nrm_residualILi1024ELi16EdiiEEvT3_T2_PKS2_S4_PKS1_PKT1_21rocsparse_index_base_S4_S4_S6_S9_SA_S4_S4_S6_S9_SA_S9_PNS_15floating_traitsIS7_E6data_tEPKSD_.numbered_sgpr, 48
	.set _ZN9rocsparseL19kernel_nrm_residualILi1024ELi16EdiiEEvT3_T2_PKS2_S4_PKS1_PKT1_21rocsparse_index_base_S4_S4_S6_S9_SA_S4_S4_S6_S9_SA_S9_PNS_15floating_traitsIS7_E6data_tEPKSD_.num_named_barrier, 0
	.set _ZN9rocsparseL19kernel_nrm_residualILi1024ELi16EdiiEEvT3_T2_PKS2_S4_PKS1_PKT1_21rocsparse_index_base_S4_S4_S6_S9_SA_S4_S4_S6_S9_SA_S9_PNS_15floating_traitsIS7_E6data_tEPKSD_.private_seg_size, 0
	.set _ZN9rocsparseL19kernel_nrm_residualILi1024ELi16EdiiEEvT3_T2_PKS2_S4_PKS1_PKT1_21rocsparse_index_base_S4_S4_S6_S9_SA_S4_S4_S6_S9_SA_S9_PNS_15floating_traitsIS7_E6data_tEPKSD_.uses_vcc, 1
	.set _ZN9rocsparseL19kernel_nrm_residualILi1024ELi16EdiiEEvT3_T2_PKS2_S4_PKS1_PKT1_21rocsparse_index_base_S4_S4_S6_S9_SA_S4_S4_S6_S9_SA_S9_PNS_15floating_traitsIS7_E6data_tEPKSD_.uses_flat_scratch, 0
	.set _ZN9rocsparseL19kernel_nrm_residualILi1024ELi16EdiiEEvT3_T2_PKS2_S4_PKS1_PKT1_21rocsparse_index_base_S4_S4_S6_S9_SA_S4_S4_S6_S9_SA_S9_PNS_15floating_traitsIS7_E6data_tEPKSD_.has_dyn_sized_stack, 0
	.set _ZN9rocsparseL19kernel_nrm_residualILi1024ELi16EdiiEEvT3_T2_PKS2_S4_PKS1_PKT1_21rocsparse_index_base_S4_S4_S6_S9_SA_S4_S4_S6_S9_SA_S9_PNS_15floating_traitsIS7_E6data_tEPKSD_.has_recursion, 0
	.set _ZN9rocsparseL19kernel_nrm_residualILi1024ELi16EdiiEEvT3_T2_PKS2_S4_PKS1_PKT1_21rocsparse_index_base_S4_S4_S6_S9_SA_S4_S4_S6_S9_SA_S9_PNS_15floating_traitsIS7_E6data_tEPKSD_.has_indirect_call, 0
	.section	.AMDGPU.csdata,"",@progbits
; Kernel info:
; codeLenInByte = 2668
; TotalNumSgprs: 50
; NumVgprs: 36
; ScratchSize: 0
; MemoryBound: 1
; FloatMode: 240
; IeeeMode: 1
; LDSByteSize: 512 bytes/workgroup (compile time only)
; SGPRBlocks: 0
; VGPRBlocks: 4
; NumSGPRsForWavesPerEU: 50
; NumVGPRsForWavesPerEU: 36
; Occupancy: 16
; WaveLimiterHint : 1
; COMPUTE_PGM_RSRC2:SCRATCH_EN: 0
; COMPUTE_PGM_RSRC2:USER_SGPR: 6
; COMPUTE_PGM_RSRC2:TRAP_HANDLER: 0
; COMPUTE_PGM_RSRC2:TGID_X_EN: 1
; COMPUTE_PGM_RSRC2:TGID_Y_EN: 0
; COMPUTE_PGM_RSRC2:TGID_Z_EN: 0
; COMPUTE_PGM_RSRC2:TIDIG_COMP_CNT: 0
	.section	.text._ZN9rocsparseL19kernel_nrm_residualILi1024ELi32EdiiEEvT3_T2_PKS2_S4_PKS1_PKT1_21rocsparse_index_base_S4_S4_S6_S9_SA_S4_S4_S6_S9_SA_S9_PNS_15floating_traitsIS7_E6data_tEPKSD_,"axG",@progbits,_ZN9rocsparseL19kernel_nrm_residualILi1024ELi32EdiiEEvT3_T2_PKS2_S4_PKS1_PKT1_21rocsparse_index_base_S4_S4_S6_S9_SA_S4_S4_S6_S9_SA_S9_PNS_15floating_traitsIS7_E6data_tEPKSD_,comdat
	.globl	_ZN9rocsparseL19kernel_nrm_residualILi1024ELi32EdiiEEvT3_T2_PKS2_S4_PKS1_PKT1_21rocsparse_index_base_S4_S4_S6_S9_SA_S4_S4_S6_S9_SA_S9_PNS_15floating_traitsIS7_E6data_tEPKSD_ ; -- Begin function _ZN9rocsparseL19kernel_nrm_residualILi1024ELi32EdiiEEvT3_T2_PKS2_S4_PKS1_PKT1_21rocsparse_index_base_S4_S4_S6_S9_SA_S4_S4_S6_S9_SA_S9_PNS_15floating_traitsIS7_E6data_tEPKSD_
	.p2align	8
	.type	_ZN9rocsparseL19kernel_nrm_residualILi1024ELi32EdiiEEvT3_T2_PKS2_S4_PKS1_PKT1_21rocsparse_index_base_S4_S4_S6_S9_SA_S4_S4_S6_S9_SA_S9_PNS_15floating_traitsIS7_E6data_tEPKSD_,@function
_ZN9rocsparseL19kernel_nrm_residualILi1024ELi32EdiiEEvT3_T2_PKS2_S4_PKS1_PKT1_21rocsparse_index_base_S4_S4_S6_S9_SA_S4_S4_S6_S9_SA_S9_PNS_15floating_traitsIS7_E6data_tEPKSD_: ; @_ZN9rocsparseL19kernel_nrm_residualILi1024ELi32EdiiEEvT3_T2_PKS2_S4_PKS1_PKT1_21rocsparse_index_base_S4_S4_S6_S9_SA_S4_S4_S6_S9_SA_S9_PNS_15floating_traitsIS7_E6data_tEPKSD_
; %bb.0:
	s_load_dword s7, s[4:5], 0x0
	v_lshrrev_b32_e32 v18, 5, v0
	s_lshl_b32 s34, s6, 10
	v_mov_b32_e32 v3, 0
	v_and_b32_e32 v19, 31, v0
	v_mov_b32_e32 v4, 0
	v_or_b32_e32 v1, s34, v18
	s_mov_b32 s6, exec_lo
	s_waitcnt lgkmcnt(0)
	v_cmpx_gt_i32_e64 s7, v1
	s_cbranch_execz .LBB26_40
; %bb.1:
	v_mov_b32_e32 v3, 0
	v_mov_b32_e32 v4, 0
	s_addk_i32 s34, 0x400
	s_mov_b32 s33, exec_lo
	v_cmpx_gt_u32_e64 s34, v1
	s_cbranch_execz .LBB26_39
; %bb.2:
	s_clause 0x6
	s_load_dword s35, s[4:5], 0x28
	s_load_dwordx8 s[8:15], s[4:5], 0x58
	s_load_dwordx8 s[16:23], s[4:5], 0x30
	;; [unrolled: 1-line block ×3, first 2 shown]
	s_load_dword s36, s[4:5], 0x50
	s_load_dwordx2 s[2:3], s[4:5], 0x80
	s_load_dword s37, s[4:5], 0x78
	v_mov_b32_e32 v3, 0
	v_mov_b32_e32 v4, 0
	;; [unrolled: 1-line block ×3, first 2 shown]
	s_mov_b32 s38, 0
	s_waitcnt lgkmcnt(0)
	v_subrev_nc_u32_e32 v20, s35, v19
	s_branch .LBB26_6
.LBB26_3:                               ;   in Loop: Header=BB26_6 Depth=1
	s_or_b32 exec_lo, exec_lo, s41
.LBB26_4:                               ;   in Loop: Header=BB26_6 Depth=1
	s_or_b32 exec_lo, exec_lo, s40
.LBB26_5:                               ;   in Loop: Header=BB26_6 Depth=1
	s_or_b32 exec_lo, exec_lo, s39
	v_add_nc_u32_e32 v1, 32, v1
	v_cmp_le_u32_e32 vcc_lo, s34, v1
	s_or_b32 s38, vcc_lo, s38
	s_andn2_b32 exec_lo, exec_lo, s38
	s_cbranch_execz .LBB26_38
.LBB26_6:                               ; =>This Loop Header: Depth=1
                                        ;     Child Loop BB26_10 Depth 2
                                        ;       Child Loop BB26_14 Depth 3
                                        ;       Child Loop BB26_24 Depth 3
	;; [unrolled: 1-line block ×3, first 2 shown]
	s_mov_b32 s39, exec_lo
	v_cmpx_gt_i32_e64 s7, v1
	s_cbranch_execz .LBB26_5
; %bb.7:                                ;   in Loop: Header=BB26_6 Depth=1
	v_ashrrev_i32_e32 v2, 31, v1
	s_mov_b32 s40, exec_lo
	v_lshlrev_b64 v[8:9], 2, v[1:2]
	v_add_co_u32 v10, vcc_lo, s24, v8
	v_add_co_ci_u32_e64 v11, null, s25, v9, vcc_lo
	v_add_co_u32 v12, vcc_lo, s26, v8
	v_add_co_ci_u32_e64 v13, null, s27, v9, vcc_lo
	global_load_dword v2, v[10:11], off
	global_load_dword v5, v[12:13], off
	s_waitcnt vmcnt(1)
	v_add_nc_u32_e32 v7, v20, v2
	s_waitcnt vmcnt(0)
	v_subrev_nc_u32_e32 v2, s35, v5
	v_cmpx_lt_i32_e64 v7, v2
	s_cbranch_execz .LBB26_4
; %bb.8:                                ;   in Loop: Header=BB26_6 Depth=1
	v_add_co_u32 v10, vcc_lo, s16, v8
	v_add_co_ci_u32_e64 v11, null, s17, v9, vcc_lo
	v_add_co_u32 v8, vcc_lo, s18, v8
	v_add_co_ci_u32_e64 v9, null, s19, v9, vcc_lo
	global_load_dword v5, v[10:11], off
	s_mov_b32 s41, 0
	global_load_dword v8, v[8:9], off
	s_waitcnt vmcnt(1)
	v_subrev_nc_u32_e32 v9, s36, v5
	s_waitcnt vmcnt(0)
	v_sub_nc_u32_e32 v21, v8, v5
	v_ashrrev_i32_e32 v10, 31, v9
	v_lshlrev_b64 v[11:12], 2, v[9:10]
	v_lshlrev_b64 v[13:14], 3, v[9:10]
	v_add_co_u32 v22, vcc_lo, s20, v11
	v_add_co_ci_u32_e64 v23, null, s21, v12, vcc_lo
	v_add_co_u32 v24, vcc_lo, s22, v13
	v_add_co_ci_u32_e64 v25, null, s23, v14, vcc_lo
	v_cmp_lt_i32_e32 vcc_lo, 0, v21
	s_branch .LBB26_10
.LBB26_9:                               ;   in Loop: Header=BB26_10 Depth=2
	s_or_b32 exec_lo, exec_lo, s1
	v_lshlrev_b64 v[10:11], 3, v[7:8]
	v_add_nc_u32_e32 v7, 32, v7
	v_add_co_u32 v10, s0, s30, v10
	v_add_co_ci_u32_e64 v11, null, s31, v11, s0
	v_cmp_ge_i32_e64 s0, v7, v2
	global_load_dwordx2 v[10:11], v[10:11], off
	s_waitcnt vmcnt(0)
	v_add_f64 v[10:11], v[10:11], -v[12:13]
	v_cmp_nlg_f64_e64 s1, 0x7ff00000, |v[10:11]|
	v_cmp_gt_f64_e64 s42, v[3:4], |v[10:11]|
	v_and_b32_e32 v5, 0x7fffffff, v11
	s_or_b32 s1, s1, s42
	s_or_b32 s41, s0, s41
	v_cndmask_b32_e64 v4, v5, v4, s1
	v_cndmask_b32_e64 v3, v10, v3, s1
	s_andn2_b32 exec_lo, exec_lo, s41
	s_cbranch_execz .LBB26_3
.LBB26_10:                              ;   Parent Loop BB26_6 Depth=1
                                        ; =>  This Loop Header: Depth=2
                                        ;       Child Loop BB26_14 Depth 3
                                        ;       Child Loop BB26_24 Depth 3
	;; [unrolled: 1-line block ×3, first 2 shown]
	v_ashrrev_i32_e32 v8, 31, v7
	v_lshlrev_b64 v[10:11], 2, v[7:8]
	v_add_co_u32 v10, s0, s28, v10
	v_add_co_ci_u32_e64 v11, null, s29, v11, s0
	global_load_dword v5, v[10:11], off
	s_waitcnt vmcnt(0)
	v_subrev_nc_u32_e32 v10, s35, v5
	v_ashrrev_i32_e32 v11, 31, v10
	v_lshlrev_b64 v[12:13], 2, v[10:11]
	v_add_co_u32 v14, s0, s8, v12
	v_add_co_ci_u32_e64 v15, null, s9, v13, s0
	v_add_co_u32 v12, s0, s10, v12
	v_add_co_ci_u32_e64 v13, null, s11, v13, s0
	global_load_dword v5, v[14:15], off
	global_load_dword v16, v[12:13], off
	v_mov_b32_e32 v15, 0
	v_mov_b32_e32 v12, 0
	;; [unrolled: 1-line block ×3, first 2 shown]
	s_waitcnt vmcnt(1)
	v_subrev_nc_u32_e32 v14, s37, v5
	s_waitcnt vmcnt(0)
	v_sub_nc_u32_e32 v26, v16, v5
	v_mov_b32_e32 v5, v15
	s_and_saveexec_b32 s42, vcc_lo
	s_cbranch_execz .LBB26_18
; %bb.11:                               ;   in Loop: Header=BB26_10 Depth=2
	v_ashrrev_i32_e32 v15, 31, v14
	v_mov_b32_e32 v12, 0
	v_mov_b32_e32 v13, 0
	;; [unrolled: 1-line block ×3, first 2 shown]
	s_mov_b32 s43, 0
	v_lshlrev_b64 v[27:28], 2, v[14:15]
	v_lshlrev_b64 v[15:16], 3, v[14:15]
                                        ; implicit-def: $sgpr44
	v_add_co_u32 v17, s0, s12, v27
	v_add_co_ci_u32_e64 v27, null, s13, v28, s0
	v_add_co_u32 v28, s0, s14, v15
	v_add_co_ci_u32_e64 v29, null, s15, v16, s0
	v_mov_b32_e32 v15, 0
	s_branch .LBB26_14
.LBB26_12:                              ;   in Loop: Header=BB26_14 Depth=3
	s_or_b32 exec_lo, exec_lo, s1
	v_cmp_le_i32_e64 s0, v30, v31
	v_cmp_ge_i32_e64 s1, v30, v31
	v_add_co_ci_u32_e64 v5, null, 0, v5, s0
	v_add_co_ci_u32_e64 v15, null, 0, v15, s1
	s_andn2_b32 s1, s44, exec_lo
	v_cmp_ge_i32_e64 s0, v5, v21
	s_and_b32 s0, s0, exec_lo
	s_or_b32 s44, s1, s0
.LBB26_13:                              ;   in Loop: Header=BB26_14 Depth=3
	s_or_b32 exec_lo, exec_lo, s45
	s_and_b32 s0, exec_lo, s44
	s_or_b32 s43, s0, s43
	s_andn2_b32 exec_lo, exec_lo, s43
	s_cbranch_execz .LBB26_17
.LBB26_14:                              ;   Parent Loop BB26_6 Depth=1
                                        ;     Parent Loop BB26_10 Depth=2
                                        ; =>    This Inner Loop Header: Depth=3
	s_or_b32 s44, s44, exec_lo
	s_mov_b32 s45, exec_lo
	v_cmpx_lt_i32_e64 v15, v26
	s_cbranch_execz .LBB26_13
; %bb.15:                               ;   in Loop: Header=BB26_14 Depth=3
	v_mov_b32_e32 v16, v6
	v_lshlrev_b64 v[30:31], 2, v[5:6]
	s_mov_b32 s1, exec_lo
	v_lshlrev_b64 v[32:33], 2, v[15:16]
	v_add_co_u32 v30, s0, v22, v30
	v_add_co_ci_u32_e64 v31, null, v23, v31, s0
	v_add_co_u32 v32, s0, v17, v32
	v_add_co_ci_u32_e64 v33, null, v27, v33, s0
	global_load_dword v30, v[30:31], off
	global_load_dword v31, v[32:33], off
	s_waitcnt vmcnt(1)
	v_subrev_nc_u32_e32 v30, s36, v30
	s_waitcnt vmcnt(0)
	v_subrev_nc_u32_e32 v31, s37, v31
	v_cmpx_eq_u32_e64 v30, v31
	s_cbranch_execz .LBB26_12
; %bb.16:                               ;   in Loop: Header=BB26_14 Depth=3
	v_lshlrev_b64 v[32:33], 3, v[5:6]
	v_lshlrev_b64 v[34:35], 3, v[15:16]
	v_add_co_u32 v32, s0, v24, v32
	v_add_co_ci_u32_e64 v33, null, v25, v33, s0
	v_add_co_u32 v34, s0, v28, v34
	v_add_co_ci_u32_e64 v35, null, v29, v35, s0
	global_load_dwordx2 v[32:33], v[32:33], off
	global_load_dwordx2 v[34:35], v[34:35], off
	s_waitcnt vmcnt(0)
	v_fma_f64 v[12:13], v[32:33], v[34:35], v[12:13]
	s_branch .LBB26_12
.LBB26_17:                              ;   in Loop: Header=BB26_10 Depth=2
	s_or_b32 exec_lo, exec_lo, s43
.LBB26_18:                              ;   in Loop: Header=BB26_10 Depth=2
	s_or_b32 exec_lo, exec_lo, s42
	s_mov_b32 s1, exec_lo
	v_cmpx_ge_i32_e64 v15, v26
	s_xor_b32 s1, exec_lo, s1
	s_cbranch_execnz .LBB26_21
; %bb.19:                               ;   in Loop: Header=BB26_10 Depth=2
	s_andn2_saveexec_b32 s1, s1
	s_cbranch_execnz .LBB26_30
.LBB26_20:                              ;   in Loop: Header=BB26_10 Depth=2
	s_or_b32 exec_lo, exec_lo, s1
	s_mov_b32 s1, exec_lo
	v_cmpx_eq_u32_e64 v1, v10
	s_cbranch_execz .LBB26_9
	s_branch .LBB26_37
.LBB26_21:                              ;   in Loop: Header=BB26_10 Depth=2
	s_mov_b32 s42, exec_lo
	v_cmpx_lt_i32_e64 v5, v21
	s_cbranch_execz .LBB26_29
; %bb.22:                               ;   in Loop: Header=BB26_10 Depth=2
	s_mov_b32 s43, 0
                                        ; implicit-def: $sgpr44
                                        ; implicit-def: $sgpr46
                                        ; implicit-def: $sgpr45
	s_inst_prefetch 0x1
	s_branch .LBB26_24
	.p2align	6
.LBB26_23:                              ;   in Loop: Header=BB26_24 Depth=3
	s_or_b32 exec_lo, exec_lo, s47
	s_and_b32 s0, exec_lo, s46
	s_or_b32 s43, s0, s43
	s_andn2_b32 s0, s44, exec_lo
	s_and_b32 s44, s45, exec_lo
	s_or_b32 s44, s0, s44
	s_andn2_b32 exec_lo, exec_lo, s43
	s_cbranch_execz .LBB26_26
.LBB26_24:                              ;   Parent Loop BB26_6 Depth=1
                                        ;     Parent Loop BB26_10 Depth=2
                                        ; =>    This Inner Loop Header: Depth=3
	v_add_nc_u32_e32 v14, v9, v5
	s_or_b32 s45, s45, exec_lo
	s_or_b32 s46, s46, exec_lo
	s_mov_b32 s47, exec_lo
	v_ashrrev_i32_e32 v15, 31, v14
	v_lshlrev_b64 v[16:17], 2, v[14:15]
	v_add_co_u32 v16, s0, s20, v16
	v_add_co_ci_u32_e64 v17, null, s21, v17, s0
	global_load_dword v16, v[16:17], off
	s_waitcnt vmcnt(0)
	v_subrev_nc_u32_e32 v16, s36, v16
	v_cmpx_ne_u32_e64 v16, v10
	s_cbranch_execz .LBB26_23
; %bb.25:                               ;   in Loop: Header=BB26_24 Depth=3
	v_add_nc_u32_e32 v5, 1, v5
	s_andn2_b32 s46, s46, exec_lo
	s_andn2_b32 s45, s45, exec_lo
	v_cmp_ge_i32_e64 s0, v5, v21
	s_and_b32 s0, s0, exec_lo
	s_or_b32 s46, s46, s0
	s_branch .LBB26_23
.LBB26_26:                              ;   in Loop: Header=BB26_10 Depth=2
	s_inst_prefetch 0x2
	s_or_b32 exec_lo, exec_lo, s43
	s_and_saveexec_b32 s0, s44
	s_xor_b32 s43, exec_lo, s0
	s_cbranch_execz .LBB26_28
; %bb.27:                               ;   in Loop: Header=BB26_10 Depth=2
	v_lshlrev_b64 v[14:15], 3, v[14:15]
	v_lshlrev_b64 v[16:17], 3, v[10:11]
	v_add_co_u32 v14, s0, s22, v14
	v_add_co_ci_u32_e64 v15, null, s23, v15, s0
	v_add_co_u32 v16, s0, s2, v16
	v_add_co_ci_u32_e64 v17, null, s3, v17, s0
	global_load_dwordx2 v[14:15], v[14:15], off
	global_load_dwordx2 v[16:17], v[16:17], off
	s_waitcnt vmcnt(0)
	v_fma_f64 v[12:13], v[14:15], v[16:17], v[12:13]
.LBB26_28:                              ;   in Loop: Header=BB26_10 Depth=2
	s_or_b32 exec_lo, exec_lo, s43
.LBB26_29:                              ;   in Loop: Header=BB26_10 Depth=2
	s_or_b32 exec_lo, exec_lo, s42
                                        ; implicit-def: $vgpr15
                                        ; implicit-def: $vgpr14
                                        ; implicit-def: $vgpr26
	s_andn2_saveexec_b32 s1, s1
	s_cbranch_execz .LBB26_20
.LBB26_30:                              ;   in Loop: Header=BB26_10 Depth=2
	s_mov_b32 s42, 0
                                        ; implicit-def: $sgpr43
                                        ; implicit-def: $sgpr45
                                        ; implicit-def: $sgpr44
	s_inst_prefetch 0x1
	s_branch .LBB26_32
	.p2align	6
.LBB26_31:                              ;   in Loop: Header=BB26_32 Depth=3
	s_or_b32 exec_lo, exec_lo, s46
	s_and_b32 s0, exec_lo, s45
	s_or_b32 s42, s0, s42
	s_andn2_b32 s0, s43, exec_lo
	s_and_b32 s43, s44, exec_lo
	s_or_b32 s43, s0, s43
	s_andn2_b32 exec_lo, exec_lo, s42
	s_cbranch_execz .LBB26_34
.LBB26_32:                              ;   Parent Loop BB26_6 Depth=1
                                        ;     Parent Loop BB26_10 Depth=2
                                        ; =>    This Inner Loop Header: Depth=3
	v_add_nc_u32_e32 v16, v14, v15
	s_or_b32 s44, s44, exec_lo
	s_or_b32 s45, s45, exec_lo
	s_mov_b32 s46, exec_lo
	v_ashrrev_i32_e32 v17, 31, v16
	v_lshlrev_b64 v[27:28], 2, v[16:17]
	v_add_co_u32 v27, s0, s12, v27
	v_add_co_ci_u32_e64 v28, null, s13, v28, s0
	global_load_dword v5, v[27:28], off
	s_waitcnt vmcnt(0)
	v_subrev_nc_u32_e32 v5, s37, v5
	v_cmpx_ne_u32_e64 v5, v1
	s_cbranch_execz .LBB26_31
; %bb.33:                               ;   in Loop: Header=BB26_32 Depth=3
	v_add_nc_u32_e32 v15, 1, v15
	s_andn2_b32 s45, s45, exec_lo
	s_andn2_b32 s44, s44, exec_lo
	v_cmp_ge_i32_e64 s0, v15, v26
	s_and_b32 s0, s0, exec_lo
	s_or_b32 s45, s45, s0
	s_branch .LBB26_31
.LBB26_34:                              ;   in Loop: Header=BB26_10 Depth=2
	s_inst_prefetch 0x2
	s_or_b32 exec_lo, exec_lo, s42
	s_and_saveexec_b32 s0, s43
	s_xor_b32 s42, exec_lo, s0
	s_cbranch_execz .LBB26_36
; %bb.35:                               ;   in Loop: Header=BB26_10 Depth=2
	v_lshlrev_b64 v[14:15], 3, v[16:17]
	v_add_co_u32 v14, s0, s14, v14
	v_add_co_ci_u32_e64 v15, null, s15, v15, s0
	global_load_dwordx2 v[14:15], v[14:15], off
	s_waitcnt vmcnt(0)
	v_add_f64 v[12:13], v[12:13], v[14:15]
.LBB26_36:                              ;   in Loop: Header=BB26_10 Depth=2
	s_or_b32 exec_lo, exec_lo, s42
	s_or_b32 exec_lo, exec_lo, s1
	s_mov_b32 s1, exec_lo
	v_cmpx_eq_u32_e64 v1, v10
	s_cbranch_execz .LBB26_9
.LBB26_37:                              ;   in Loop: Header=BB26_10 Depth=2
	v_lshlrev_b64 v[10:11], 3, v[10:11]
	v_add_co_u32 v10, s0, s2, v10
	v_add_co_ci_u32_e64 v11, null, s3, v11, s0
	global_load_dwordx2 v[10:11], v[10:11], off
	s_waitcnt vmcnt(0)
	v_add_f64 v[12:13], v[12:13], v[10:11]
	s_branch .LBB26_9
.LBB26_38:
	s_or_b32 exec_lo, exec_lo, s38
.LBB26_39:
	s_or_b32 exec_lo, exec_lo, s33
.LBB26_40:
	s_or_b32 exec_lo, exec_lo, s6
	v_mbcnt_lo_u32_b32 v5, -1, 0
	v_xor_b32_e32 v1, 16, v5
	v_xor_b32_e32 v6, 8, v5
	v_cmp_gt_i32_e32 vcc_lo, 32, v1
	v_cmp_gt_i32_e64 s0, 32, v6
	v_cndmask_b32_e32 v1, v5, v1, vcc_lo
	v_cndmask_b32_e64 v6, v5, v6, s0
	v_lshlrev_b32_e32 v2, 2, v1
	v_lshlrev_b32_e32 v6, 2, v6
	ds_bpermute_b32 v1, v2, v3
	ds_bpermute_b32 v2, v2, v4
	s_waitcnt lgkmcnt(0)
	v_cmp_lt_f64_e32 vcc_lo, v[3:4], v[1:2]
	v_cndmask_b32_e32 v2, v4, v2, vcc_lo
	v_cndmask_b32_e32 v1, v3, v1, vcc_lo
	ds_bpermute_b32 v4, v6, v2
	ds_bpermute_b32 v3, v6, v1
	v_xor_b32_e32 v6, 4, v5
	v_cmp_gt_i32_e64 s0, 32, v6
	v_cndmask_b32_e64 v6, v5, v6, s0
	v_lshlrev_b32_e32 v6, 2, v6
	s_waitcnt lgkmcnt(0)
	v_cmp_lt_f64_e32 vcc_lo, v[1:2], v[3:4]
	v_cndmask_b32_e32 v2, v2, v4, vcc_lo
	v_cndmask_b32_e32 v1, v1, v3, vcc_lo
	ds_bpermute_b32 v4, v6, v2
	ds_bpermute_b32 v3, v6, v1
	v_xor_b32_e32 v6, 2, v5
	v_cmp_gt_i32_e64 s0, 32, v6
	v_cndmask_b32_e64 v6, v5, v6, s0
	v_lshlrev_b32_e32 v6, 2, v6
	s_waitcnt lgkmcnt(0)
	v_cmp_lt_f64_e32 vcc_lo, v[1:2], v[3:4]
	v_cndmask_b32_e32 v2, v2, v4, vcc_lo
	v_cndmask_b32_e32 v1, v1, v3, vcc_lo
	ds_bpermute_b32 v4, v6, v2
	ds_bpermute_b32 v3, v6, v1
	v_xor_b32_e32 v6, 1, v5
	v_cmp_gt_i32_e64 s0, 32, v6
	v_cndmask_b32_e64 v5, v5, v6, s0
	s_mov_b32 s0, exec_lo
	v_lshlrev_b32_e32 v5, 2, v5
	s_waitcnt lgkmcnt(0)
	v_cmp_lt_f64_e32 vcc_lo, v[1:2], v[3:4]
	v_cndmask_b32_e32 v2, v2, v4, vcc_lo
	v_cndmask_b32_e32 v1, v1, v3, vcc_lo
	ds_bpermute_b32 v3, v5, v1
	ds_bpermute_b32 v5, v5, v2
	v_cmpx_eq_u32_e32 31, v19
	s_cbranch_execz .LBB26_42
; %bb.41:
	s_waitcnt lgkmcnt(0)
	v_mov_b32_e32 v4, v5
	v_cmp_lt_f64_e32 vcc_lo, v[1:2], v[3:4]
	v_lshlrev_b32_e32 v4, 3, v18
	v_cndmask_b32_e32 v2, v2, v5, vcc_lo
	v_cndmask_b32_e32 v1, v1, v3, vcc_lo
	ds_write_b64 v4, v[1:2]
.LBB26_42:
	s_or_b32 exec_lo, exec_lo, s0
	v_lshlrev_b32_e32 v1, 3, v0
	s_mov_b32 s0, exec_lo
	s_waitcnt lgkmcnt(0)
	s_barrier
	buffer_gl0_inv
	v_cmpx_gt_u32_e32 16, v0
	s_cbranch_execz .LBB26_44
; %bb.43:
	ds_read2_b64 v[2:5], v1 offset1:16
	s_waitcnt lgkmcnt(0)
	v_cmp_lt_f64_e32 vcc_lo, v[2:3], v[4:5]
	v_cndmask_b32_e32 v3, v3, v5, vcc_lo
	v_cndmask_b32_e32 v2, v2, v4, vcc_lo
	ds_write_b64 v1, v[2:3]
.LBB26_44:
	s_or_b32 exec_lo, exec_lo, s0
	s_mov_b32 s0, exec_lo
	s_waitcnt lgkmcnt(0)
	s_barrier
	buffer_gl0_inv
	v_cmpx_gt_u32_e32 8, v0
	s_cbranch_execz .LBB26_46
; %bb.45:
	ds_read2_b64 v[2:5], v1 offset1:8
	s_waitcnt lgkmcnt(0)
	v_cmp_lt_f64_e32 vcc_lo, v[2:3], v[4:5]
	v_cndmask_b32_e32 v3, v3, v5, vcc_lo
	v_cndmask_b32_e32 v2, v2, v4, vcc_lo
	ds_write_b64 v1, v[2:3]
.LBB26_46:
	s_or_b32 exec_lo, exec_lo, s0
	;; [unrolled: 15-line block ×4, first 2 shown]
	v_cmp_eq_u32_e32 vcc_lo, 0, v0
	s_waitcnt lgkmcnt(0)
	s_barrier
	buffer_gl0_inv
	s_and_saveexec_b32 s1, vcc_lo
	s_cbranch_execz .LBB26_52
; %bb.51:
	v_mov_b32_e32 v4, 0
	ds_read_b128 v[0:3], v4
	s_waitcnt lgkmcnt(0)
	v_cmp_lt_f64_e64 s0, v[0:1], v[2:3]
	v_cndmask_b32_e64 v1, v1, v3, s0
	v_cndmask_b32_e64 v0, v0, v2, s0
	ds_write_b64 v4, v[0:1]
.LBB26_52:
	s_or_b32 exec_lo, exec_lo, s1
	s_waitcnt lgkmcnt(0)
	s_barrier
	buffer_gl0_inv
	s_and_saveexec_b32 s0, vcc_lo
	s_cbranch_execz .LBB26_56
; %bb.53:
	v_mbcnt_lo_u32_b32 v0, exec_lo, 0
	s_mov_b32 s6, 0
	v_cmp_eq_u32_e32 vcc_lo, 0, v0
	s_and_b32 exec_lo, exec_lo, vcc_lo
	s_cbranch_execz .LBB26_56
; %bb.54:
	s_load_dwordx4 s[0:3], s[4:5], 0x88
	v_mov_b32_e32 v6, 0
	ds_read_b64 v[0:1], v6
	s_waitcnt lgkmcnt(0)
	s_load_dwordx2 s[2:3], s[2:3], 0x0
	s_waitcnt lgkmcnt(0)
	v_div_scale_f64 v[2:3], null, s[2:3], s[2:3], v[0:1]
	v_rcp_f64_e32 v[4:5], v[2:3]
	v_fma_f64 v[7:8], -v[2:3], v[4:5], 1.0
	v_fma_f64 v[4:5], v[4:5], v[7:8], v[4:5]
	v_fma_f64 v[7:8], -v[2:3], v[4:5], 1.0
	v_fma_f64 v[4:5], v[4:5], v[7:8], v[4:5]
	v_div_scale_f64 v[7:8], vcc_lo, v[0:1], s[2:3], v[0:1]
	v_mul_f64 v[9:10], v[7:8], v[4:5]
	v_fma_f64 v[2:3], -v[2:3], v[9:10], v[7:8]
	v_div_fmas_f64 v[2:3], v[2:3], v[4:5], v[9:10]
	v_div_fixup_f64 v[0:1], v[2:3], s[2:3], v[0:1]
	s_load_dwordx2 s[2:3], s[0:1], 0x0
	s_waitcnt lgkmcnt(0)
	v_mov_b32_e32 v2, s2
	v_max_f64 v[4:5], v[0:1], v[0:1]
	v_mov_b32_e32 v3, s3
.LBB26_55:                              ; =>This Inner Loop Header: Depth=1
	v_max_f64 v[0:1], v[2:3], v[2:3]
	v_max_f64 v[0:1], v[0:1], v[4:5]
	global_atomic_cmpswap_x2 v[0:1], v6, v[0:3], s[0:1] glc
	s_waitcnt vmcnt(0)
	v_cmp_eq_u64_e32 vcc_lo, v[0:1], v[2:3]
	v_mov_b32_e32 v3, v1
	v_mov_b32_e32 v2, v0
	s_or_b32 s6, vcc_lo, s6
	s_andn2_b32 exec_lo, exec_lo, s6
	s_cbranch_execnz .LBB26_55
.LBB26_56:
	s_endpgm
	.section	.rodata,"a",@progbits
	.p2align	6, 0x0
	.amdhsa_kernel _ZN9rocsparseL19kernel_nrm_residualILi1024ELi32EdiiEEvT3_T2_PKS2_S4_PKS1_PKT1_21rocsparse_index_base_S4_S4_S6_S9_SA_S4_S4_S6_S9_SA_S9_PNS_15floating_traitsIS7_E6data_tEPKSD_
		.amdhsa_group_segment_fixed_size 256
		.amdhsa_private_segment_fixed_size 0
		.amdhsa_kernarg_size 152
		.amdhsa_user_sgpr_count 6
		.amdhsa_user_sgpr_private_segment_buffer 1
		.amdhsa_user_sgpr_dispatch_ptr 0
		.amdhsa_user_sgpr_queue_ptr 0
		.amdhsa_user_sgpr_kernarg_segment_ptr 1
		.amdhsa_user_sgpr_dispatch_id 0
		.amdhsa_user_sgpr_flat_scratch_init 0
		.amdhsa_user_sgpr_private_segment_size 0
		.amdhsa_wavefront_size32 1
		.amdhsa_uses_dynamic_stack 0
		.amdhsa_system_sgpr_private_segment_wavefront_offset 0
		.amdhsa_system_sgpr_workgroup_id_x 1
		.amdhsa_system_sgpr_workgroup_id_y 0
		.amdhsa_system_sgpr_workgroup_id_z 0
		.amdhsa_system_sgpr_workgroup_info 0
		.amdhsa_system_vgpr_workitem_id 0
		.amdhsa_next_free_vgpr 36
		.amdhsa_next_free_sgpr 48
		.amdhsa_reserve_vcc 1
		.amdhsa_reserve_flat_scratch 0
		.amdhsa_float_round_mode_32 0
		.amdhsa_float_round_mode_16_64 0
		.amdhsa_float_denorm_mode_32 3
		.amdhsa_float_denorm_mode_16_64 3
		.amdhsa_dx10_clamp 1
		.amdhsa_ieee_mode 1
		.amdhsa_fp16_overflow 0
		.amdhsa_workgroup_processor_mode 1
		.amdhsa_memory_ordered 1
		.amdhsa_forward_progress 1
		.amdhsa_shared_vgpr_count 0
		.amdhsa_exception_fp_ieee_invalid_op 0
		.amdhsa_exception_fp_denorm_src 0
		.amdhsa_exception_fp_ieee_div_zero 0
		.amdhsa_exception_fp_ieee_overflow 0
		.amdhsa_exception_fp_ieee_underflow 0
		.amdhsa_exception_fp_ieee_inexact 0
		.amdhsa_exception_int_div_zero 0
	.end_amdhsa_kernel
	.section	.text._ZN9rocsparseL19kernel_nrm_residualILi1024ELi32EdiiEEvT3_T2_PKS2_S4_PKS1_PKT1_21rocsparse_index_base_S4_S4_S6_S9_SA_S4_S4_S6_S9_SA_S9_PNS_15floating_traitsIS7_E6data_tEPKSD_,"axG",@progbits,_ZN9rocsparseL19kernel_nrm_residualILi1024ELi32EdiiEEvT3_T2_PKS2_S4_PKS1_PKT1_21rocsparse_index_base_S4_S4_S6_S9_SA_S4_S4_S6_S9_SA_S9_PNS_15floating_traitsIS7_E6data_tEPKSD_,comdat
.Lfunc_end26:
	.size	_ZN9rocsparseL19kernel_nrm_residualILi1024ELi32EdiiEEvT3_T2_PKS2_S4_PKS1_PKT1_21rocsparse_index_base_S4_S4_S6_S9_SA_S4_S4_S6_S9_SA_S9_PNS_15floating_traitsIS7_E6data_tEPKSD_, .Lfunc_end26-_ZN9rocsparseL19kernel_nrm_residualILi1024ELi32EdiiEEvT3_T2_PKS2_S4_PKS1_PKT1_21rocsparse_index_base_S4_S4_S6_S9_SA_S4_S4_S6_S9_SA_S9_PNS_15floating_traitsIS7_E6data_tEPKSD_
                                        ; -- End function
	.set _ZN9rocsparseL19kernel_nrm_residualILi1024ELi32EdiiEEvT3_T2_PKS2_S4_PKS1_PKT1_21rocsparse_index_base_S4_S4_S6_S9_SA_S4_S4_S6_S9_SA_S9_PNS_15floating_traitsIS7_E6data_tEPKSD_.num_vgpr, 36
	.set _ZN9rocsparseL19kernel_nrm_residualILi1024ELi32EdiiEEvT3_T2_PKS2_S4_PKS1_PKT1_21rocsparse_index_base_S4_S4_S6_S9_SA_S4_S4_S6_S9_SA_S9_PNS_15floating_traitsIS7_E6data_tEPKSD_.num_agpr, 0
	.set _ZN9rocsparseL19kernel_nrm_residualILi1024ELi32EdiiEEvT3_T2_PKS2_S4_PKS1_PKT1_21rocsparse_index_base_S4_S4_S6_S9_SA_S4_S4_S6_S9_SA_S9_PNS_15floating_traitsIS7_E6data_tEPKSD_.numbered_sgpr, 48
	.set _ZN9rocsparseL19kernel_nrm_residualILi1024ELi32EdiiEEvT3_T2_PKS2_S4_PKS1_PKT1_21rocsparse_index_base_S4_S4_S6_S9_SA_S4_S4_S6_S9_SA_S9_PNS_15floating_traitsIS7_E6data_tEPKSD_.num_named_barrier, 0
	.set _ZN9rocsparseL19kernel_nrm_residualILi1024ELi32EdiiEEvT3_T2_PKS2_S4_PKS1_PKT1_21rocsparse_index_base_S4_S4_S6_S9_SA_S4_S4_S6_S9_SA_S9_PNS_15floating_traitsIS7_E6data_tEPKSD_.private_seg_size, 0
	.set _ZN9rocsparseL19kernel_nrm_residualILi1024ELi32EdiiEEvT3_T2_PKS2_S4_PKS1_PKT1_21rocsparse_index_base_S4_S4_S6_S9_SA_S4_S4_S6_S9_SA_S9_PNS_15floating_traitsIS7_E6data_tEPKSD_.uses_vcc, 1
	.set _ZN9rocsparseL19kernel_nrm_residualILi1024ELi32EdiiEEvT3_T2_PKS2_S4_PKS1_PKT1_21rocsparse_index_base_S4_S4_S6_S9_SA_S4_S4_S6_S9_SA_S9_PNS_15floating_traitsIS7_E6data_tEPKSD_.uses_flat_scratch, 0
	.set _ZN9rocsparseL19kernel_nrm_residualILi1024ELi32EdiiEEvT3_T2_PKS2_S4_PKS1_PKT1_21rocsparse_index_base_S4_S4_S6_S9_SA_S4_S4_S6_S9_SA_S9_PNS_15floating_traitsIS7_E6data_tEPKSD_.has_dyn_sized_stack, 0
	.set _ZN9rocsparseL19kernel_nrm_residualILi1024ELi32EdiiEEvT3_T2_PKS2_S4_PKS1_PKT1_21rocsparse_index_base_S4_S4_S6_S9_SA_S4_S4_S6_S9_SA_S9_PNS_15floating_traitsIS7_E6data_tEPKSD_.has_recursion, 0
	.set _ZN9rocsparseL19kernel_nrm_residualILi1024ELi32EdiiEEvT3_T2_PKS2_S4_PKS1_PKT1_21rocsparse_index_base_S4_S4_S6_S9_SA_S4_S4_S6_S9_SA_S9_PNS_15floating_traitsIS7_E6data_tEPKSD_.has_indirect_call, 0
	.section	.AMDGPU.csdata,"",@progbits
; Kernel info:
; codeLenInByte = 2660
; TotalNumSgprs: 50
; NumVgprs: 36
; ScratchSize: 0
; MemoryBound: 1
; FloatMode: 240
; IeeeMode: 1
; LDSByteSize: 256 bytes/workgroup (compile time only)
; SGPRBlocks: 0
; VGPRBlocks: 4
; NumSGPRsForWavesPerEU: 50
; NumVGPRsForWavesPerEU: 36
; Occupancy: 16
; WaveLimiterHint : 1
; COMPUTE_PGM_RSRC2:SCRATCH_EN: 0
; COMPUTE_PGM_RSRC2:USER_SGPR: 6
; COMPUTE_PGM_RSRC2:TRAP_HANDLER: 0
; COMPUTE_PGM_RSRC2:TGID_X_EN: 1
; COMPUTE_PGM_RSRC2:TGID_Y_EN: 0
; COMPUTE_PGM_RSRC2:TGID_Z_EN: 0
; COMPUTE_PGM_RSRC2:TIDIG_COMP_CNT: 0
	.section	.text._ZN9rocsparseL19kernel_nrm_residualILi1024ELi64EdiiEEvT3_T2_PKS2_S4_PKS1_PKT1_21rocsparse_index_base_S4_S4_S6_S9_SA_S4_S4_S6_S9_SA_S9_PNS_15floating_traitsIS7_E6data_tEPKSD_,"axG",@progbits,_ZN9rocsparseL19kernel_nrm_residualILi1024ELi64EdiiEEvT3_T2_PKS2_S4_PKS1_PKT1_21rocsparse_index_base_S4_S4_S6_S9_SA_S4_S4_S6_S9_SA_S9_PNS_15floating_traitsIS7_E6data_tEPKSD_,comdat
	.globl	_ZN9rocsparseL19kernel_nrm_residualILi1024ELi64EdiiEEvT3_T2_PKS2_S4_PKS1_PKT1_21rocsparse_index_base_S4_S4_S6_S9_SA_S4_S4_S6_S9_SA_S9_PNS_15floating_traitsIS7_E6data_tEPKSD_ ; -- Begin function _ZN9rocsparseL19kernel_nrm_residualILi1024ELi64EdiiEEvT3_T2_PKS2_S4_PKS1_PKT1_21rocsparse_index_base_S4_S4_S6_S9_SA_S4_S4_S6_S9_SA_S9_PNS_15floating_traitsIS7_E6data_tEPKSD_
	.p2align	8
	.type	_ZN9rocsparseL19kernel_nrm_residualILi1024ELi64EdiiEEvT3_T2_PKS2_S4_PKS1_PKT1_21rocsparse_index_base_S4_S4_S6_S9_SA_S4_S4_S6_S9_SA_S9_PNS_15floating_traitsIS7_E6data_tEPKSD_,@function
_ZN9rocsparseL19kernel_nrm_residualILi1024ELi64EdiiEEvT3_T2_PKS2_S4_PKS1_PKT1_21rocsparse_index_base_S4_S4_S6_S9_SA_S4_S4_S6_S9_SA_S9_PNS_15floating_traitsIS7_E6data_tEPKSD_: ; @_ZN9rocsparseL19kernel_nrm_residualILi1024ELi64EdiiEEvT3_T2_PKS2_S4_PKS1_PKT1_21rocsparse_index_base_S4_S4_S6_S9_SA_S4_S4_S6_S9_SA_S9_PNS_15floating_traitsIS7_E6data_tEPKSD_
; %bb.0:
	s_load_dword s7, s[4:5], 0x0
	v_lshrrev_b32_e32 v18, 6, v0
	s_lshl_b32 s34, s6, 10
	v_mov_b32_e32 v3, 0
	v_and_b32_e32 v19, 63, v0
	v_mov_b32_e32 v4, 0
	v_or_b32_e32 v1, s34, v18
	s_mov_b32 s6, exec_lo
	s_waitcnt lgkmcnt(0)
	v_cmpx_gt_i32_e64 s7, v1
	s_cbranch_execz .LBB27_40
; %bb.1:
	v_mov_b32_e32 v3, 0
	v_mov_b32_e32 v4, 0
	s_addk_i32 s34, 0x400
	s_mov_b32 s33, exec_lo
	v_cmpx_gt_u32_e64 s34, v1
	s_cbranch_execz .LBB27_39
; %bb.2:
	s_clause 0x6
	s_load_dword s35, s[4:5], 0x28
	s_load_dwordx8 s[8:15], s[4:5], 0x58
	s_load_dwordx8 s[16:23], s[4:5], 0x30
	;; [unrolled: 1-line block ×3, first 2 shown]
	s_load_dword s36, s[4:5], 0x50
	s_load_dwordx2 s[2:3], s[4:5], 0x80
	s_load_dword s37, s[4:5], 0x78
	v_mov_b32_e32 v3, 0
	v_mov_b32_e32 v4, 0
	;; [unrolled: 1-line block ×3, first 2 shown]
	s_mov_b32 s38, 0
	s_waitcnt lgkmcnt(0)
	v_subrev_nc_u32_e32 v20, s35, v19
	s_branch .LBB27_6
.LBB27_3:                               ;   in Loop: Header=BB27_6 Depth=1
	s_or_b32 exec_lo, exec_lo, s41
.LBB27_4:                               ;   in Loop: Header=BB27_6 Depth=1
	s_or_b32 exec_lo, exec_lo, s40
.LBB27_5:                               ;   in Loop: Header=BB27_6 Depth=1
	s_or_b32 exec_lo, exec_lo, s39
	v_add_nc_u32_e32 v1, 16, v1
	v_cmp_le_u32_e32 vcc_lo, s34, v1
	s_or_b32 s38, vcc_lo, s38
	s_andn2_b32 exec_lo, exec_lo, s38
	s_cbranch_execz .LBB27_38
.LBB27_6:                               ; =>This Loop Header: Depth=1
                                        ;     Child Loop BB27_10 Depth 2
                                        ;       Child Loop BB27_14 Depth 3
                                        ;       Child Loop BB27_24 Depth 3
	;; [unrolled: 1-line block ×3, first 2 shown]
	s_mov_b32 s39, exec_lo
	v_cmpx_gt_i32_e64 s7, v1
	s_cbranch_execz .LBB27_5
; %bb.7:                                ;   in Loop: Header=BB27_6 Depth=1
	v_ashrrev_i32_e32 v2, 31, v1
	s_mov_b32 s40, exec_lo
	v_lshlrev_b64 v[8:9], 2, v[1:2]
	v_add_co_u32 v10, vcc_lo, s24, v8
	v_add_co_ci_u32_e64 v11, null, s25, v9, vcc_lo
	v_add_co_u32 v12, vcc_lo, s26, v8
	v_add_co_ci_u32_e64 v13, null, s27, v9, vcc_lo
	global_load_dword v2, v[10:11], off
	global_load_dword v5, v[12:13], off
	s_waitcnt vmcnt(1)
	v_add_nc_u32_e32 v7, v20, v2
	s_waitcnt vmcnt(0)
	v_subrev_nc_u32_e32 v2, s35, v5
	v_cmpx_lt_i32_e64 v7, v2
	s_cbranch_execz .LBB27_4
; %bb.8:                                ;   in Loop: Header=BB27_6 Depth=1
	v_add_co_u32 v10, vcc_lo, s16, v8
	v_add_co_ci_u32_e64 v11, null, s17, v9, vcc_lo
	v_add_co_u32 v8, vcc_lo, s18, v8
	v_add_co_ci_u32_e64 v9, null, s19, v9, vcc_lo
	global_load_dword v5, v[10:11], off
	s_mov_b32 s41, 0
	global_load_dword v8, v[8:9], off
	s_waitcnt vmcnt(1)
	v_subrev_nc_u32_e32 v9, s36, v5
	s_waitcnt vmcnt(0)
	v_sub_nc_u32_e32 v21, v8, v5
	v_ashrrev_i32_e32 v10, 31, v9
	v_lshlrev_b64 v[11:12], 2, v[9:10]
	v_lshlrev_b64 v[13:14], 3, v[9:10]
	v_add_co_u32 v22, vcc_lo, s20, v11
	v_add_co_ci_u32_e64 v23, null, s21, v12, vcc_lo
	v_add_co_u32 v24, vcc_lo, s22, v13
	v_add_co_ci_u32_e64 v25, null, s23, v14, vcc_lo
	v_cmp_lt_i32_e32 vcc_lo, 0, v21
	s_branch .LBB27_10
.LBB27_9:                               ;   in Loop: Header=BB27_10 Depth=2
	s_or_b32 exec_lo, exec_lo, s1
	v_lshlrev_b64 v[10:11], 3, v[7:8]
	v_add_nc_u32_e32 v7, 64, v7
	v_add_co_u32 v10, s0, s30, v10
	v_add_co_ci_u32_e64 v11, null, s31, v11, s0
	v_cmp_ge_i32_e64 s0, v7, v2
	global_load_dwordx2 v[10:11], v[10:11], off
	s_waitcnt vmcnt(0)
	v_add_f64 v[10:11], v[10:11], -v[12:13]
	v_cmp_nlg_f64_e64 s1, 0x7ff00000, |v[10:11]|
	v_cmp_gt_f64_e64 s42, v[3:4], |v[10:11]|
	v_and_b32_e32 v5, 0x7fffffff, v11
	s_or_b32 s1, s1, s42
	s_or_b32 s41, s0, s41
	v_cndmask_b32_e64 v4, v5, v4, s1
	v_cndmask_b32_e64 v3, v10, v3, s1
	s_andn2_b32 exec_lo, exec_lo, s41
	s_cbranch_execz .LBB27_3
.LBB27_10:                              ;   Parent Loop BB27_6 Depth=1
                                        ; =>  This Loop Header: Depth=2
                                        ;       Child Loop BB27_14 Depth 3
                                        ;       Child Loop BB27_24 Depth 3
                                        ;       Child Loop BB27_32 Depth 3
	v_ashrrev_i32_e32 v8, 31, v7
	v_lshlrev_b64 v[10:11], 2, v[7:8]
	v_add_co_u32 v10, s0, s28, v10
	v_add_co_ci_u32_e64 v11, null, s29, v11, s0
	global_load_dword v5, v[10:11], off
	s_waitcnt vmcnt(0)
	v_subrev_nc_u32_e32 v10, s35, v5
	v_ashrrev_i32_e32 v11, 31, v10
	v_lshlrev_b64 v[12:13], 2, v[10:11]
	v_add_co_u32 v14, s0, s8, v12
	v_add_co_ci_u32_e64 v15, null, s9, v13, s0
	v_add_co_u32 v12, s0, s10, v12
	v_add_co_ci_u32_e64 v13, null, s11, v13, s0
	global_load_dword v5, v[14:15], off
	global_load_dword v16, v[12:13], off
	v_mov_b32_e32 v15, 0
	v_mov_b32_e32 v12, 0
	;; [unrolled: 1-line block ×3, first 2 shown]
	s_waitcnt vmcnt(1)
	v_subrev_nc_u32_e32 v14, s37, v5
	s_waitcnt vmcnt(0)
	v_sub_nc_u32_e32 v26, v16, v5
	v_mov_b32_e32 v5, v15
	s_and_saveexec_b32 s42, vcc_lo
	s_cbranch_execz .LBB27_18
; %bb.11:                               ;   in Loop: Header=BB27_10 Depth=2
	v_ashrrev_i32_e32 v15, 31, v14
	v_mov_b32_e32 v12, 0
	v_mov_b32_e32 v13, 0
	;; [unrolled: 1-line block ×3, first 2 shown]
	s_mov_b32 s43, 0
	v_lshlrev_b64 v[27:28], 2, v[14:15]
	v_lshlrev_b64 v[15:16], 3, v[14:15]
                                        ; implicit-def: $sgpr44
	v_add_co_u32 v17, s0, s12, v27
	v_add_co_ci_u32_e64 v27, null, s13, v28, s0
	v_add_co_u32 v28, s0, s14, v15
	v_add_co_ci_u32_e64 v29, null, s15, v16, s0
	v_mov_b32_e32 v15, 0
	s_branch .LBB27_14
.LBB27_12:                              ;   in Loop: Header=BB27_14 Depth=3
	s_or_b32 exec_lo, exec_lo, s1
	v_cmp_le_i32_e64 s0, v30, v31
	v_cmp_ge_i32_e64 s1, v30, v31
	v_add_co_ci_u32_e64 v5, null, 0, v5, s0
	v_add_co_ci_u32_e64 v15, null, 0, v15, s1
	s_andn2_b32 s1, s44, exec_lo
	v_cmp_ge_i32_e64 s0, v5, v21
	s_and_b32 s0, s0, exec_lo
	s_or_b32 s44, s1, s0
.LBB27_13:                              ;   in Loop: Header=BB27_14 Depth=3
	s_or_b32 exec_lo, exec_lo, s45
	s_and_b32 s0, exec_lo, s44
	s_or_b32 s43, s0, s43
	s_andn2_b32 exec_lo, exec_lo, s43
	s_cbranch_execz .LBB27_17
.LBB27_14:                              ;   Parent Loop BB27_6 Depth=1
                                        ;     Parent Loop BB27_10 Depth=2
                                        ; =>    This Inner Loop Header: Depth=3
	s_or_b32 s44, s44, exec_lo
	s_mov_b32 s45, exec_lo
	v_cmpx_lt_i32_e64 v15, v26
	s_cbranch_execz .LBB27_13
; %bb.15:                               ;   in Loop: Header=BB27_14 Depth=3
	v_mov_b32_e32 v16, v6
	v_lshlrev_b64 v[30:31], 2, v[5:6]
	s_mov_b32 s1, exec_lo
	v_lshlrev_b64 v[32:33], 2, v[15:16]
	v_add_co_u32 v30, s0, v22, v30
	v_add_co_ci_u32_e64 v31, null, v23, v31, s0
	v_add_co_u32 v32, s0, v17, v32
	v_add_co_ci_u32_e64 v33, null, v27, v33, s0
	global_load_dword v30, v[30:31], off
	global_load_dword v31, v[32:33], off
	s_waitcnt vmcnt(1)
	v_subrev_nc_u32_e32 v30, s36, v30
	s_waitcnt vmcnt(0)
	v_subrev_nc_u32_e32 v31, s37, v31
	v_cmpx_eq_u32_e64 v30, v31
	s_cbranch_execz .LBB27_12
; %bb.16:                               ;   in Loop: Header=BB27_14 Depth=3
	v_lshlrev_b64 v[32:33], 3, v[5:6]
	v_lshlrev_b64 v[34:35], 3, v[15:16]
	v_add_co_u32 v32, s0, v24, v32
	v_add_co_ci_u32_e64 v33, null, v25, v33, s0
	v_add_co_u32 v34, s0, v28, v34
	v_add_co_ci_u32_e64 v35, null, v29, v35, s0
	global_load_dwordx2 v[32:33], v[32:33], off
	global_load_dwordx2 v[34:35], v[34:35], off
	s_waitcnt vmcnt(0)
	v_fma_f64 v[12:13], v[32:33], v[34:35], v[12:13]
	s_branch .LBB27_12
.LBB27_17:                              ;   in Loop: Header=BB27_10 Depth=2
	s_or_b32 exec_lo, exec_lo, s43
.LBB27_18:                              ;   in Loop: Header=BB27_10 Depth=2
	s_or_b32 exec_lo, exec_lo, s42
	s_mov_b32 s1, exec_lo
	v_cmpx_ge_i32_e64 v15, v26
	s_xor_b32 s1, exec_lo, s1
	s_cbranch_execnz .LBB27_21
; %bb.19:                               ;   in Loop: Header=BB27_10 Depth=2
	s_andn2_saveexec_b32 s1, s1
	s_cbranch_execnz .LBB27_30
.LBB27_20:                              ;   in Loop: Header=BB27_10 Depth=2
	s_or_b32 exec_lo, exec_lo, s1
	s_mov_b32 s1, exec_lo
	v_cmpx_eq_u32_e64 v1, v10
	s_cbranch_execz .LBB27_9
	s_branch .LBB27_37
.LBB27_21:                              ;   in Loop: Header=BB27_10 Depth=2
	s_mov_b32 s42, exec_lo
	v_cmpx_lt_i32_e64 v5, v21
	s_cbranch_execz .LBB27_29
; %bb.22:                               ;   in Loop: Header=BB27_10 Depth=2
	s_mov_b32 s43, 0
                                        ; implicit-def: $sgpr44
                                        ; implicit-def: $sgpr46
                                        ; implicit-def: $sgpr45
	s_inst_prefetch 0x1
	s_branch .LBB27_24
	.p2align	6
.LBB27_23:                              ;   in Loop: Header=BB27_24 Depth=3
	s_or_b32 exec_lo, exec_lo, s47
	s_and_b32 s0, exec_lo, s46
	s_or_b32 s43, s0, s43
	s_andn2_b32 s0, s44, exec_lo
	s_and_b32 s44, s45, exec_lo
	s_or_b32 s44, s0, s44
	s_andn2_b32 exec_lo, exec_lo, s43
	s_cbranch_execz .LBB27_26
.LBB27_24:                              ;   Parent Loop BB27_6 Depth=1
                                        ;     Parent Loop BB27_10 Depth=2
                                        ; =>    This Inner Loop Header: Depth=3
	v_add_nc_u32_e32 v14, v9, v5
	s_or_b32 s45, s45, exec_lo
	s_or_b32 s46, s46, exec_lo
	s_mov_b32 s47, exec_lo
	v_ashrrev_i32_e32 v15, 31, v14
	v_lshlrev_b64 v[16:17], 2, v[14:15]
	v_add_co_u32 v16, s0, s20, v16
	v_add_co_ci_u32_e64 v17, null, s21, v17, s0
	global_load_dword v16, v[16:17], off
	s_waitcnt vmcnt(0)
	v_subrev_nc_u32_e32 v16, s36, v16
	v_cmpx_ne_u32_e64 v16, v10
	s_cbranch_execz .LBB27_23
; %bb.25:                               ;   in Loop: Header=BB27_24 Depth=3
	v_add_nc_u32_e32 v5, 1, v5
	s_andn2_b32 s46, s46, exec_lo
	s_andn2_b32 s45, s45, exec_lo
	v_cmp_ge_i32_e64 s0, v5, v21
	s_and_b32 s0, s0, exec_lo
	s_or_b32 s46, s46, s0
	s_branch .LBB27_23
.LBB27_26:                              ;   in Loop: Header=BB27_10 Depth=2
	s_inst_prefetch 0x2
	s_or_b32 exec_lo, exec_lo, s43
	s_and_saveexec_b32 s0, s44
	s_xor_b32 s43, exec_lo, s0
	s_cbranch_execz .LBB27_28
; %bb.27:                               ;   in Loop: Header=BB27_10 Depth=2
	v_lshlrev_b64 v[14:15], 3, v[14:15]
	v_lshlrev_b64 v[16:17], 3, v[10:11]
	v_add_co_u32 v14, s0, s22, v14
	v_add_co_ci_u32_e64 v15, null, s23, v15, s0
	v_add_co_u32 v16, s0, s2, v16
	v_add_co_ci_u32_e64 v17, null, s3, v17, s0
	global_load_dwordx2 v[14:15], v[14:15], off
	global_load_dwordx2 v[16:17], v[16:17], off
	s_waitcnt vmcnt(0)
	v_fma_f64 v[12:13], v[14:15], v[16:17], v[12:13]
.LBB27_28:                              ;   in Loop: Header=BB27_10 Depth=2
	s_or_b32 exec_lo, exec_lo, s43
.LBB27_29:                              ;   in Loop: Header=BB27_10 Depth=2
	s_or_b32 exec_lo, exec_lo, s42
                                        ; implicit-def: $vgpr15
                                        ; implicit-def: $vgpr14
                                        ; implicit-def: $vgpr26
	s_andn2_saveexec_b32 s1, s1
	s_cbranch_execz .LBB27_20
.LBB27_30:                              ;   in Loop: Header=BB27_10 Depth=2
	s_mov_b32 s42, 0
                                        ; implicit-def: $sgpr43
                                        ; implicit-def: $sgpr45
                                        ; implicit-def: $sgpr44
	s_inst_prefetch 0x1
	s_branch .LBB27_32
	.p2align	6
.LBB27_31:                              ;   in Loop: Header=BB27_32 Depth=3
	s_or_b32 exec_lo, exec_lo, s46
	s_and_b32 s0, exec_lo, s45
	s_or_b32 s42, s0, s42
	s_andn2_b32 s0, s43, exec_lo
	s_and_b32 s43, s44, exec_lo
	s_or_b32 s43, s0, s43
	s_andn2_b32 exec_lo, exec_lo, s42
	s_cbranch_execz .LBB27_34
.LBB27_32:                              ;   Parent Loop BB27_6 Depth=1
                                        ;     Parent Loop BB27_10 Depth=2
                                        ; =>    This Inner Loop Header: Depth=3
	v_add_nc_u32_e32 v16, v14, v15
	s_or_b32 s44, s44, exec_lo
	s_or_b32 s45, s45, exec_lo
	s_mov_b32 s46, exec_lo
	v_ashrrev_i32_e32 v17, 31, v16
	v_lshlrev_b64 v[27:28], 2, v[16:17]
	v_add_co_u32 v27, s0, s12, v27
	v_add_co_ci_u32_e64 v28, null, s13, v28, s0
	global_load_dword v5, v[27:28], off
	s_waitcnt vmcnt(0)
	v_subrev_nc_u32_e32 v5, s37, v5
	v_cmpx_ne_u32_e64 v5, v1
	s_cbranch_execz .LBB27_31
; %bb.33:                               ;   in Loop: Header=BB27_32 Depth=3
	v_add_nc_u32_e32 v15, 1, v15
	s_andn2_b32 s45, s45, exec_lo
	s_andn2_b32 s44, s44, exec_lo
	v_cmp_ge_i32_e64 s0, v15, v26
	s_and_b32 s0, s0, exec_lo
	s_or_b32 s45, s45, s0
	s_branch .LBB27_31
.LBB27_34:                              ;   in Loop: Header=BB27_10 Depth=2
	s_inst_prefetch 0x2
	s_or_b32 exec_lo, exec_lo, s42
	s_and_saveexec_b32 s0, s43
	s_xor_b32 s42, exec_lo, s0
	s_cbranch_execz .LBB27_36
; %bb.35:                               ;   in Loop: Header=BB27_10 Depth=2
	v_lshlrev_b64 v[14:15], 3, v[16:17]
	v_add_co_u32 v14, s0, s14, v14
	v_add_co_ci_u32_e64 v15, null, s15, v15, s0
	global_load_dwordx2 v[14:15], v[14:15], off
	s_waitcnt vmcnt(0)
	v_add_f64 v[12:13], v[12:13], v[14:15]
.LBB27_36:                              ;   in Loop: Header=BB27_10 Depth=2
	s_or_b32 exec_lo, exec_lo, s42
	s_or_b32 exec_lo, exec_lo, s1
	s_mov_b32 s1, exec_lo
	v_cmpx_eq_u32_e64 v1, v10
	s_cbranch_execz .LBB27_9
.LBB27_37:                              ;   in Loop: Header=BB27_10 Depth=2
	v_lshlrev_b64 v[10:11], 3, v[10:11]
	v_add_co_u32 v10, s0, s2, v10
	v_add_co_ci_u32_e64 v11, null, s3, v11, s0
	global_load_dwordx2 v[10:11], v[10:11], off
	s_waitcnt vmcnt(0)
	v_add_f64 v[12:13], v[12:13], v[10:11]
	s_branch .LBB27_9
.LBB27_38:
	s_or_b32 exec_lo, exec_lo, s38
.LBB27_39:
	s_or_b32 exec_lo, exec_lo, s33
.LBB27_40:
	s_or_b32 exec_lo, exec_lo, s6
	v_mbcnt_lo_u32_b32 v5, -1, 0
	v_or_b32_e32 v1, 32, v5
	v_xor_b32_e32 v6, 16, v5
	v_cmp_gt_i32_e32 vcc_lo, 32, v1
	v_cmp_gt_i32_e64 s0, 32, v6
	v_cndmask_b32_e32 v1, v5, v1, vcc_lo
	v_cndmask_b32_e64 v6, v5, v6, s0
	v_lshlrev_b32_e32 v2, 2, v1
	v_lshlrev_b32_e32 v6, 2, v6
	ds_bpermute_b32 v1, v2, v3
	ds_bpermute_b32 v2, v2, v4
	s_waitcnt lgkmcnt(0)
	v_cmp_lt_f64_e32 vcc_lo, v[3:4], v[1:2]
	v_cndmask_b32_e32 v2, v4, v2, vcc_lo
	v_cndmask_b32_e32 v1, v3, v1, vcc_lo
	ds_bpermute_b32 v4, v6, v2
	ds_bpermute_b32 v3, v6, v1
	v_xor_b32_e32 v6, 8, v5
	v_cmp_gt_i32_e64 s0, 32, v6
	v_cndmask_b32_e64 v6, v5, v6, s0
	v_lshlrev_b32_e32 v6, 2, v6
	s_waitcnt lgkmcnt(0)
	v_cmp_lt_f64_e32 vcc_lo, v[1:2], v[3:4]
	v_cndmask_b32_e32 v2, v2, v4, vcc_lo
	v_cndmask_b32_e32 v1, v1, v3, vcc_lo
	ds_bpermute_b32 v4, v6, v2
	ds_bpermute_b32 v3, v6, v1
	v_xor_b32_e32 v6, 4, v5
	v_cmp_gt_i32_e64 s0, 32, v6
	v_cndmask_b32_e64 v6, v5, v6, s0
	v_lshlrev_b32_e32 v6, 2, v6
	;; [unrolled: 10-line block ×3, first 2 shown]
	s_waitcnt lgkmcnt(0)
	v_cmp_lt_f64_e32 vcc_lo, v[1:2], v[3:4]
	v_cndmask_b32_e32 v2, v2, v4, vcc_lo
	v_cndmask_b32_e32 v1, v1, v3, vcc_lo
	ds_bpermute_b32 v4, v6, v2
	ds_bpermute_b32 v3, v6, v1
	v_xor_b32_e32 v6, 1, v5
	v_cmp_gt_i32_e64 s0, 32, v6
	v_cndmask_b32_e64 v5, v5, v6, s0
	s_mov_b32 s0, exec_lo
	v_lshlrev_b32_e32 v5, 2, v5
	s_waitcnt lgkmcnt(0)
	v_cmp_lt_f64_e32 vcc_lo, v[1:2], v[3:4]
	v_cndmask_b32_e32 v2, v2, v4, vcc_lo
	v_cndmask_b32_e32 v1, v1, v3, vcc_lo
	ds_bpermute_b32 v3, v5, v1
	ds_bpermute_b32 v5, v5, v2
	v_cmpx_eq_u32_e32 63, v19
	s_cbranch_execz .LBB27_42
; %bb.41:
	s_waitcnt lgkmcnt(0)
	v_mov_b32_e32 v4, v5
	v_cmp_lt_f64_e32 vcc_lo, v[1:2], v[3:4]
	v_lshlrev_b32_e32 v4, 3, v18
	v_cndmask_b32_e32 v2, v2, v5, vcc_lo
	v_cndmask_b32_e32 v1, v1, v3, vcc_lo
	ds_write_b64 v4, v[1:2]
.LBB27_42:
	s_or_b32 exec_lo, exec_lo, s0
	v_lshlrev_b32_e32 v1, 3, v0
	s_mov_b32 s0, exec_lo
	s_waitcnt lgkmcnt(0)
	s_barrier
	buffer_gl0_inv
	v_cmpx_gt_u32_e32 8, v0
	s_cbranch_execz .LBB27_44
; %bb.43:
	ds_read2_b64 v[2:5], v1 offset1:8
	s_waitcnt lgkmcnt(0)
	v_cmp_lt_f64_e32 vcc_lo, v[2:3], v[4:5]
	v_cndmask_b32_e32 v3, v3, v5, vcc_lo
	v_cndmask_b32_e32 v2, v2, v4, vcc_lo
	ds_write_b64 v1, v[2:3]
.LBB27_44:
	s_or_b32 exec_lo, exec_lo, s0
	s_mov_b32 s0, exec_lo
	s_waitcnt lgkmcnt(0)
	s_barrier
	buffer_gl0_inv
	v_cmpx_gt_u32_e32 4, v0
	s_cbranch_execz .LBB27_46
; %bb.45:
	ds_read2_b64 v[2:5], v1 offset1:4
	s_waitcnt lgkmcnt(0)
	v_cmp_lt_f64_e32 vcc_lo, v[2:3], v[4:5]
	v_cndmask_b32_e32 v3, v3, v5, vcc_lo
	v_cndmask_b32_e32 v2, v2, v4, vcc_lo
	ds_write_b64 v1, v[2:3]
.LBB27_46:
	s_or_b32 exec_lo, exec_lo, s0
	;; [unrolled: 15-line block ×3, first 2 shown]
	v_cmp_eq_u32_e32 vcc_lo, 0, v0
	s_waitcnt lgkmcnt(0)
	s_barrier
	buffer_gl0_inv
	s_and_saveexec_b32 s1, vcc_lo
	s_cbranch_execz .LBB27_50
; %bb.49:
	v_mov_b32_e32 v4, 0
	ds_read_b128 v[0:3], v4
	s_waitcnt lgkmcnt(0)
	v_cmp_lt_f64_e64 s0, v[0:1], v[2:3]
	v_cndmask_b32_e64 v1, v1, v3, s0
	v_cndmask_b32_e64 v0, v0, v2, s0
	ds_write_b64 v4, v[0:1]
.LBB27_50:
	s_or_b32 exec_lo, exec_lo, s1
	s_waitcnt lgkmcnt(0)
	s_barrier
	buffer_gl0_inv
	s_and_saveexec_b32 s0, vcc_lo
	s_cbranch_execz .LBB27_54
; %bb.51:
	v_mbcnt_lo_u32_b32 v0, exec_lo, 0
	s_mov_b32 s6, 0
	v_cmp_eq_u32_e32 vcc_lo, 0, v0
	s_and_b32 exec_lo, exec_lo, vcc_lo
	s_cbranch_execz .LBB27_54
; %bb.52:
	s_load_dwordx4 s[0:3], s[4:5], 0x88
	v_mov_b32_e32 v6, 0
	ds_read_b64 v[0:1], v6
	s_waitcnt lgkmcnt(0)
	s_load_dwordx2 s[2:3], s[2:3], 0x0
	s_waitcnt lgkmcnt(0)
	v_div_scale_f64 v[2:3], null, s[2:3], s[2:3], v[0:1]
	v_rcp_f64_e32 v[4:5], v[2:3]
	v_fma_f64 v[7:8], -v[2:3], v[4:5], 1.0
	v_fma_f64 v[4:5], v[4:5], v[7:8], v[4:5]
	v_fma_f64 v[7:8], -v[2:3], v[4:5], 1.0
	v_fma_f64 v[4:5], v[4:5], v[7:8], v[4:5]
	v_div_scale_f64 v[7:8], vcc_lo, v[0:1], s[2:3], v[0:1]
	v_mul_f64 v[9:10], v[7:8], v[4:5]
	v_fma_f64 v[2:3], -v[2:3], v[9:10], v[7:8]
	v_div_fmas_f64 v[2:3], v[2:3], v[4:5], v[9:10]
	v_div_fixup_f64 v[0:1], v[2:3], s[2:3], v[0:1]
	s_load_dwordx2 s[2:3], s[0:1], 0x0
	s_waitcnt lgkmcnt(0)
	v_mov_b32_e32 v2, s2
	v_max_f64 v[4:5], v[0:1], v[0:1]
	v_mov_b32_e32 v3, s3
.LBB27_53:                              ; =>This Inner Loop Header: Depth=1
	v_max_f64 v[0:1], v[2:3], v[2:3]
	v_max_f64 v[0:1], v[0:1], v[4:5]
	global_atomic_cmpswap_x2 v[0:1], v6, v[0:3], s[0:1] glc
	s_waitcnt vmcnt(0)
	v_cmp_eq_u64_e32 vcc_lo, v[0:1], v[2:3]
	v_mov_b32_e32 v3, v1
	v_mov_b32_e32 v2, v0
	s_or_b32 s6, vcc_lo, s6
	s_andn2_b32 exec_lo, exec_lo, s6
	s_cbranch_execnz .LBB27_53
.LBB27_54:
	s_endpgm
	.section	.rodata,"a",@progbits
	.p2align	6, 0x0
	.amdhsa_kernel _ZN9rocsparseL19kernel_nrm_residualILi1024ELi64EdiiEEvT3_T2_PKS2_S4_PKS1_PKT1_21rocsparse_index_base_S4_S4_S6_S9_SA_S4_S4_S6_S9_SA_S9_PNS_15floating_traitsIS7_E6data_tEPKSD_
		.amdhsa_group_segment_fixed_size 128
		.amdhsa_private_segment_fixed_size 0
		.amdhsa_kernarg_size 152
		.amdhsa_user_sgpr_count 6
		.amdhsa_user_sgpr_private_segment_buffer 1
		.amdhsa_user_sgpr_dispatch_ptr 0
		.amdhsa_user_sgpr_queue_ptr 0
		.amdhsa_user_sgpr_kernarg_segment_ptr 1
		.amdhsa_user_sgpr_dispatch_id 0
		.amdhsa_user_sgpr_flat_scratch_init 0
		.amdhsa_user_sgpr_private_segment_size 0
		.amdhsa_wavefront_size32 1
		.amdhsa_uses_dynamic_stack 0
		.amdhsa_system_sgpr_private_segment_wavefront_offset 0
		.amdhsa_system_sgpr_workgroup_id_x 1
		.amdhsa_system_sgpr_workgroup_id_y 0
		.amdhsa_system_sgpr_workgroup_id_z 0
		.amdhsa_system_sgpr_workgroup_info 0
		.amdhsa_system_vgpr_workitem_id 0
		.amdhsa_next_free_vgpr 36
		.amdhsa_next_free_sgpr 48
		.amdhsa_reserve_vcc 1
		.amdhsa_reserve_flat_scratch 0
		.amdhsa_float_round_mode_32 0
		.amdhsa_float_round_mode_16_64 0
		.amdhsa_float_denorm_mode_32 3
		.amdhsa_float_denorm_mode_16_64 3
		.amdhsa_dx10_clamp 1
		.amdhsa_ieee_mode 1
		.amdhsa_fp16_overflow 0
		.amdhsa_workgroup_processor_mode 1
		.amdhsa_memory_ordered 1
		.amdhsa_forward_progress 1
		.amdhsa_shared_vgpr_count 0
		.amdhsa_exception_fp_ieee_invalid_op 0
		.amdhsa_exception_fp_denorm_src 0
		.amdhsa_exception_fp_ieee_div_zero 0
		.amdhsa_exception_fp_ieee_overflow 0
		.amdhsa_exception_fp_ieee_underflow 0
		.amdhsa_exception_fp_ieee_inexact 0
		.amdhsa_exception_int_div_zero 0
	.end_amdhsa_kernel
	.section	.text._ZN9rocsparseL19kernel_nrm_residualILi1024ELi64EdiiEEvT3_T2_PKS2_S4_PKS1_PKT1_21rocsparse_index_base_S4_S4_S6_S9_SA_S4_S4_S6_S9_SA_S9_PNS_15floating_traitsIS7_E6data_tEPKSD_,"axG",@progbits,_ZN9rocsparseL19kernel_nrm_residualILi1024ELi64EdiiEEvT3_T2_PKS2_S4_PKS1_PKT1_21rocsparse_index_base_S4_S4_S6_S9_SA_S4_S4_S6_S9_SA_S9_PNS_15floating_traitsIS7_E6data_tEPKSD_,comdat
.Lfunc_end27:
	.size	_ZN9rocsparseL19kernel_nrm_residualILi1024ELi64EdiiEEvT3_T2_PKS2_S4_PKS1_PKT1_21rocsparse_index_base_S4_S4_S6_S9_SA_S4_S4_S6_S9_SA_S9_PNS_15floating_traitsIS7_E6data_tEPKSD_, .Lfunc_end27-_ZN9rocsparseL19kernel_nrm_residualILi1024ELi64EdiiEEvT3_T2_PKS2_S4_PKS1_PKT1_21rocsparse_index_base_S4_S4_S6_S9_SA_S4_S4_S6_S9_SA_S9_PNS_15floating_traitsIS7_E6data_tEPKSD_
                                        ; -- End function
	.set _ZN9rocsparseL19kernel_nrm_residualILi1024ELi64EdiiEEvT3_T2_PKS2_S4_PKS1_PKT1_21rocsparse_index_base_S4_S4_S6_S9_SA_S4_S4_S6_S9_SA_S9_PNS_15floating_traitsIS7_E6data_tEPKSD_.num_vgpr, 36
	.set _ZN9rocsparseL19kernel_nrm_residualILi1024ELi64EdiiEEvT3_T2_PKS2_S4_PKS1_PKT1_21rocsparse_index_base_S4_S4_S6_S9_SA_S4_S4_S6_S9_SA_S9_PNS_15floating_traitsIS7_E6data_tEPKSD_.num_agpr, 0
	.set _ZN9rocsparseL19kernel_nrm_residualILi1024ELi64EdiiEEvT3_T2_PKS2_S4_PKS1_PKT1_21rocsparse_index_base_S4_S4_S6_S9_SA_S4_S4_S6_S9_SA_S9_PNS_15floating_traitsIS7_E6data_tEPKSD_.numbered_sgpr, 48
	.set _ZN9rocsparseL19kernel_nrm_residualILi1024ELi64EdiiEEvT3_T2_PKS2_S4_PKS1_PKT1_21rocsparse_index_base_S4_S4_S6_S9_SA_S4_S4_S6_S9_SA_S9_PNS_15floating_traitsIS7_E6data_tEPKSD_.num_named_barrier, 0
	.set _ZN9rocsparseL19kernel_nrm_residualILi1024ELi64EdiiEEvT3_T2_PKS2_S4_PKS1_PKT1_21rocsparse_index_base_S4_S4_S6_S9_SA_S4_S4_S6_S9_SA_S9_PNS_15floating_traitsIS7_E6data_tEPKSD_.private_seg_size, 0
	.set _ZN9rocsparseL19kernel_nrm_residualILi1024ELi64EdiiEEvT3_T2_PKS2_S4_PKS1_PKT1_21rocsparse_index_base_S4_S4_S6_S9_SA_S4_S4_S6_S9_SA_S9_PNS_15floating_traitsIS7_E6data_tEPKSD_.uses_vcc, 1
	.set _ZN9rocsparseL19kernel_nrm_residualILi1024ELi64EdiiEEvT3_T2_PKS2_S4_PKS1_PKT1_21rocsparse_index_base_S4_S4_S6_S9_SA_S4_S4_S6_S9_SA_S9_PNS_15floating_traitsIS7_E6data_tEPKSD_.uses_flat_scratch, 0
	.set _ZN9rocsparseL19kernel_nrm_residualILi1024ELi64EdiiEEvT3_T2_PKS2_S4_PKS1_PKT1_21rocsparse_index_base_S4_S4_S6_S9_SA_S4_S4_S6_S9_SA_S9_PNS_15floating_traitsIS7_E6data_tEPKSD_.has_dyn_sized_stack, 0
	.set _ZN9rocsparseL19kernel_nrm_residualILi1024ELi64EdiiEEvT3_T2_PKS2_S4_PKS1_PKT1_21rocsparse_index_base_S4_S4_S6_S9_SA_S4_S4_S6_S9_SA_S9_PNS_15floating_traitsIS7_E6data_tEPKSD_.has_recursion, 0
	.set _ZN9rocsparseL19kernel_nrm_residualILi1024ELi64EdiiEEvT3_T2_PKS2_S4_PKS1_PKT1_21rocsparse_index_base_S4_S4_S6_S9_SA_S4_S4_S6_S9_SA_S9_PNS_15floating_traitsIS7_E6data_tEPKSD_.has_indirect_call, 0
	.section	.AMDGPU.csdata,"",@progbits
; Kernel info:
; codeLenInByte = 2652
; TotalNumSgprs: 50
; NumVgprs: 36
; ScratchSize: 0
; MemoryBound: 1
; FloatMode: 240
; IeeeMode: 1
; LDSByteSize: 128 bytes/workgroup (compile time only)
; SGPRBlocks: 0
; VGPRBlocks: 4
; NumSGPRsForWavesPerEU: 50
; NumVGPRsForWavesPerEU: 36
; Occupancy: 16
; WaveLimiterHint : 1
; COMPUTE_PGM_RSRC2:SCRATCH_EN: 0
; COMPUTE_PGM_RSRC2:USER_SGPR: 6
; COMPUTE_PGM_RSRC2:TRAP_HANDLER: 0
; COMPUTE_PGM_RSRC2:TGID_X_EN: 1
; COMPUTE_PGM_RSRC2:TGID_Y_EN: 0
; COMPUTE_PGM_RSRC2:TGID_Z_EN: 0
; COMPUTE_PGM_RSRC2:TIDIG_COMP_CNT: 0
	.section	.text._ZN9rocsparseL17kernel_correctionILi1024ELi1E21rocsparse_complex_numIfEiiEEvT3_T2_PKS4_S6_PKS3_PKT1_21rocsparse_index_base_S6_S6_S8_SB_PS9_SC_S6_S6_S8_SB_SD_SC_SB_SD_,"axG",@progbits,_ZN9rocsparseL17kernel_correctionILi1024ELi1E21rocsparse_complex_numIfEiiEEvT3_T2_PKS4_S6_PKS3_PKT1_21rocsparse_index_base_S6_S6_S8_SB_PS9_SC_S6_S6_S8_SB_SD_SC_SB_SD_,comdat
	.globl	_ZN9rocsparseL17kernel_correctionILi1024ELi1E21rocsparse_complex_numIfEiiEEvT3_T2_PKS4_S6_PKS3_PKT1_21rocsparse_index_base_S6_S6_S8_SB_PS9_SC_S6_S6_S8_SB_SD_SC_SB_SD_ ; -- Begin function _ZN9rocsparseL17kernel_correctionILi1024ELi1E21rocsparse_complex_numIfEiiEEvT3_T2_PKS4_S6_PKS3_PKT1_21rocsparse_index_base_S6_S6_S8_SB_PS9_SC_S6_S6_S8_SB_SD_SC_SB_SD_
	.p2align	8
	.type	_ZN9rocsparseL17kernel_correctionILi1024ELi1E21rocsparse_complex_numIfEiiEEvT3_T2_PKS4_S6_PKS3_PKT1_21rocsparse_index_base_S6_S6_S8_SB_PS9_SC_S6_S6_S8_SB_SD_SC_SB_SD_,@function
_ZN9rocsparseL17kernel_correctionILi1024ELi1E21rocsparse_complex_numIfEiiEEvT3_T2_PKS4_S6_PKS3_PKT1_21rocsparse_index_base_S6_S6_S8_SB_PS9_SC_S6_S6_S8_SB_SD_SC_SB_SD_: ; @_ZN9rocsparseL17kernel_correctionILi1024ELi1E21rocsparse_complex_numIfEiiEEvT3_T2_PKS4_S6_PKS3_PKT1_21rocsparse_index_base_S6_S6_S8_SB_PS9_SC_S6_S6_S8_SB_SD_SC_SB_SD_
; %bb.0:
	s_load_dword s3, s[4:5], 0x0
	s_lshl_b32 s33, s6, 10
	s_mov_b32 s0, exec_lo
	v_or_b32_e32 v0, s33, v0
	s_waitcnt lgkmcnt(0)
	v_cmpx_gt_i32_e64 s3, v0
	s_cbranch_execz .LBB28_51
; %bb.1:
	s_addk_i32 s33, 0x400
	v_cmp_gt_u32_e32 vcc_lo, s33, v0
	s_and_b32 exec_lo, exec_lo, vcc_lo
	s_cbranch_execz .LBB28_51
; %bb.2:
	s_clause 0x8
	s_load_dwordx4 s[36:39], s[4:5], 0x90
	s_load_dwordx8 s[8:15], s[4:5], 0x60
	s_load_dwordx8 s[16:23], s[4:5], 0x30
	;; [unrolled: 1-line block ×3, first 2 shown]
	s_load_dword s40, s[4:5], 0x28
	s_load_dwordx2 s[6:7], s[4:5], 0x50
	s_load_dword s41, s[4:5], 0x58
	s_load_dwordx2 s[34:35], s[4:5], 0x80
	s_load_dword s4, s[4:5], 0x88
	v_mov_b32_e32 v2, 0
	s_mov_b32 s5, 0
	s_branch .LBB28_4
.LBB28_3:                               ;   in Loop: Header=BB28_4 Depth=1
	s_or_b32 exec_lo, exec_lo, s42
	v_add_nc_u32_e32 v0, 0x400, v0
	v_cmp_le_u32_e32 vcc_lo, s33, v0
	s_or_b32 s5, vcc_lo, s5
	s_andn2_b32 exec_lo, exec_lo, s5
	s_cbranch_execz .LBB28_51
.LBB28_4:                               ; =>This Loop Header: Depth=1
                                        ;     Child Loop BB28_8 Depth 2
                                        ;       Child Loop BB28_12 Depth 3
                                        ;       Child Loop BB28_34 Depth 3
                                        ;       Child Loop BB28_44 Depth 3
	s_mov_b32 s42, exec_lo
	v_cmpx_gt_i32_e64 s3, v0
	s_cbranch_execz .LBB28_3
; %bb.5:                                ;   in Loop: Header=BB28_4 Depth=1
	v_ashrrev_i32_e32 v1, 31, v0
	v_lshlrev_b64 v[3:4], 2, v[0:1]
	s_waitcnt lgkmcnt(0)
	v_add_co_u32 v5, vcc_lo, s24, v3
	v_add_co_ci_u32_e64 v6, null, s25, v4, vcc_lo
	v_add_co_u32 v7, vcc_lo, s26, v3
	v_add_co_ci_u32_e64 v8, null, s27, v4, vcc_lo
	global_load_dword v1, v[5:6], off
	global_load_dword v5, v[7:8], off
	s_waitcnt vmcnt(0)
	v_cmp_lt_i32_e32 vcc_lo, v1, v5
	s_and_b32 exec_lo, exec_lo, vcc_lo
	s_cbranch_execz .LBB28_3
; %bb.6:                                ;   in Loop: Header=BB28_4 Depth=1
	v_add_co_u32 v6, vcc_lo, s16, v3
	v_add_co_ci_u32_e64 v7, null, s17, v4, vcc_lo
	v_add_co_u32 v3, vcc_lo, s18, v3
	v_add_co_ci_u32_e64 v4, null, s19, v4, vcc_lo
	global_load_dword v8, v[6:7], off
	v_subrev_nc_u32_e32 v13, s40, v5
	v_subrev_nc_u32_e32 v5, s40, v1
	global_load_dword v9, v[3:4], off
	s_mov_b32 s43, 0
	s_waitcnt vmcnt(1)
	v_subrev_nc_u32_e32 v3, s41, v8
	s_waitcnt vmcnt(0)
	v_sub_nc_u32_e32 v14, v9, v8
	v_ashrrev_i32_e32 v4, 31, v3
	v_cmp_lt_i32_e64 s0, 0, v14
	v_lshlrev_b64 v[6:7], 2, v[3:4]
	v_lshlrev_b64 v[8:9], 3, v[3:4]
	v_add_co_u32 v4, vcc_lo, s20, v6
	v_add_co_ci_u32_e64 v15, null, s21, v7, vcc_lo
	v_add_co_u32 v16, vcc_lo, s22, v8
	v_add_co_ci_u32_e64 v17, null, s23, v9, vcc_lo
	s_branch .LBB28_8
.LBB28_7:                               ;   in Loop: Header=BB28_8 Depth=2
	s_or_b32 exec_lo, exec_lo, s2
	v_add_nc_u32_e32 v5, 1, v5
	v_cmp_ge_i32_e32 vcc_lo, v5, v13
	s_or_b32 s43, vcc_lo, s43
	s_andn2_b32 exec_lo, exec_lo, s43
	s_cbranch_execz .LBB28_3
.LBB28_8:                               ;   Parent Loop BB28_4 Depth=1
                                        ; =>  This Loop Header: Depth=2
                                        ;       Child Loop BB28_12 Depth 3
                                        ;       Child Loop BB28_34 Depth 3
                                        ;       Child Loop BB28_44 Depth 3
	v_ashrrev_i32_e32 v6, 31, v5
	v_mov_b32_e32 v18, 0
	v_lshlrev_b64 v[7:8], 2, v[5:6]
	v_add_co_u32 v7, vcc_lo, s28, v7
	v_add_co_ci_u32_e64 v8, null, s29, v8, vcc_lo
	global_load_dword v1, v[7:8], off
	s_waitcnt vmcnt(0)
	v_subrev_nc_u32_e32 v7, s40, v1
	v_mov_b32_e32 v1, 0
	v_ashrrev_i32_e32 v8, 31, v7
	v_lshlrev_b64 v[9:10], 2, v[7:8]
	v_add_co_u32 v11, vcc_lo, s8, v9
	v_add_co_ci_u32_e64 v12, null, s9, v10, vcc_lo
	v_add_co_u32 v9, vcc_lo, s10, v9
	v_add_co_ci_u32_e64 v10, null, s11, v10, vcc_lo
	global_load_dword v11, v[11:12], off
	global_load_dword v10, v[9:10], off
	v_mov_b32_e32 v12, 0
	s_waitcnt vmcnt(1)
	v_subrev_nc_u32_e32 v9, s4, v11
	s_waitcnt vmcnt(0)
	v_sub_nc_u32_e32 v19, v10, v11
	v_mov_b32_e32 v10, v1
	s_and_saveexec_b32 s2, s0
	s_cbranch_execz .LBB28_16
; %bb.9:                                ;   in Loop: Header=BB28_8 Depth=2
	v_ashrrev_i32_e32 v10, 31, v9
	v_mov_b32_e32 v12, 0
	v_mov_b32_e32 v1, 0
	;; [unrolled: 1-line block ×3, first 2 shown]
	s_mov_b32 s44, 0
	v_lshlrev_b64 v[20:21], 2, v[9:10]
	v_lshlrev_b64 v[10:11], 3, v[9:10]
                                        ; implicit-def: $sgpr45
	v_add_co_u32 v20, vcc_lo, s12, v20
	v_add_co_ci_u32_e64 v21, null, s13, v21, vcc_lo
	v_add_co_u32 v22, vcc_lo, s14, v10
	v_add_co_ci_u32_e64 v23, null, s15, v11, vcc_lo
	v_mov_b32_e32 v10, 0
	s_branch .LBB28_12
.LBB28_10:                              ;   in Loop: Header=BB28_12 Depth=3
	s_or_b32 exec_lo, exec_lo, s1
	v_cmp_le_i32_e32 vcc_lo, v24, v25
	v_cmp_ge_i32_e64 s1, v24, v25
	v_add_co_ci_u32_e64 v1, null, 0, v1, vcc_lo
	v_add_co_ci_u32_e64 v10, null, 0, v10, s1
	s_andn2_b32 s1, s45, exec_lo
	v_cmp_ge_i32_e32 vcc_lo, v1, v14
	s_and_b32 s45, vcc_lo, exec_lo
	s_or_b32 s45, s1, s45
.LBB28_11:                              ;   in Loop: Header=BB28_12 Depth=3
	s_or_b32 exec_lo, exec_lo, s46
	s_and_b32 s1, exec_lo, s45
	s_or_b32 s44, s1, s44
	s_andn2_b32 exec_lo, exec_lo, s44
	s_cbranch_execz .LBB28_15
.LBB28_12:                              ;   Parent Loop BB28_4 Depth=1
                                        ;     Parent Loop BB28_8 Depth=2
                                        ; =>    This Inner Loop Header: Depth=3
	s_or_b32 s45, s45, exec_lo
	s_mov_b32 s46, exec_lo
	v_cmpx_lt_i32_e64 v10, v19
	s_cbranch_execz .LBB28_11
; %bb.13:                               ;   in Loop: Header=BB28_12 Depth=3
	v_mov_b32_e32 v11, v2
	v_lshlrev_b64 v[24:25], 2, v[1:2]
	s_mov_b32 s1, exec_lo
	v_lshlrev_b64 v[26:27], 2, v[10:11]
	v_add_co_u32 v24, vcc_lo, v4, v24
	v_add_co_ci_u32_e64 v25, null, v15, v25, vcc_lo
	v_add_co_u32 v26, vcc_lo, v20, v26
	v_add_co_ci_u32_e64 v27, null, v21, v27, vcc_lo
	global_load_dword v24, v[24:25], off
	global_load_dword v25, v[26:27], off
	s_waitcnt vmcnt(1)
	v_subrev_nc_u32_e32 v24, s41, v24
	s_waitcnt vmcnt(0)
	v_subrev_nc_u32_e32 v25, s4, v25
	v_cmpx_eq_u32_e64 v24, v25
	s_cbranch_execz .LBB28_10
; %bb.14:                               ;   in Loop: Header=BB28_12 Depth=3
	v_lshlrev_b64 v[26:27], 3, v[1:2]
	v_lshlrev_b64 v[28:29], 3, v[10:11]
	v_add_co_u32 v26, vcc_lo, v16, v26
	v_add_co_ci_u32_e64 v27, null, v17, v27, vcc_lo
	v_add_co_u32 v28, vcc_lo, v22, v28
	v_add_co_ci_u32_e64 v29, null, v23, v29, vcc_lo
	global_load_dwordx2 v[26:27], v[26:27], off
	global_load_dwordx2 v[28:29], v[28:29], off
	s_waitcnt vmcnt(0)
	v_fmac_f32_e32 v12, v26, v28
	v_fmac_f32_e32 v18, v27, v28
	v_fma_f32 v12, -v27, v29, v12
	v_fmac_f32_e32 v18, v26, v29
	s_branch .LBB28_10
.LBB28_15:                              ;   in Loop: Header=BB28_8 Depth=2
	s_or_b32 exec_lo, exec_lo, s44
.LBB28_16:                              ;   in Loop: Header=BB28_8 Depth=2
	s_or_b32 exec_lo, exec_lo, s2
	v_lshlrev_b64 v[20:21], 3, v[5:6]
	v_cmp_le_i32_e64 s1, v0, v7
	s_mov_b32 s2, exec_lo
	v_add_co_u32 v20, vcc_lo, s30, v20
	v_add_co_ci_u32_e64 v21, null, s31, v21, vcc_lo
	global_load_dwordx2 v[20:21], v[20:21], off
	s_waitcnt vmcnt(0)
	v_sub_f32_e32 v20, v20, v12
	v_sub_f32_e32 v18, v21, v18
	v_cmpx_gt_i32_e64 v0, v7
	s_cbranch_execz .LBB28_18
; %bb.17:                               ;   in Loop: Header=BB28_8 Depth=2
	v_lshlrev_b64 v[11:12], 3, v[7:8]
	v_add_co_u32 v11, vcc_lo, s36, v11
	v_add_co_ci_u32_e64 v12, null, s37, v12, vcc_lo
	global_load_dwordx2 v[11:12], v[11:12], off
	s_waitcnt vmcnt(0)
	v_mul_f32_e32 v6, v12, v12
	v_fmac_f32_e32 v6, v11, v11
	v_div_scale_f32 v21, null, v6, v6, 1.0
	v_div_scale_f32 v24, vcc_lo, 1.0, v6, 1.0
	v_rcp_f32_e32 v22, v21
	v_fma_f32 v23, -v21, v22, 1.0
	v_fmac_f32_e32 v22, v23, v22
	v_mul_f32_e32 v23, v24, v22
	v_fma_f32 v25, -v21, v23, v24
	v_fmac_f32_e32 v23, v25, v22
	v_fma_f32 v21, -v21, v23, v24
	v_div_fmas_f32 v21, v21, v22, v23
	v_mul_f32_e32 v22, v18, v12
	v_mul_f32_e64 v12, v12, -v20
	v_div_fixup_f32 v6, v21, v6, 1.0
	v_fmac_f32_e32 v22, v20, v11
	v_fmac_f32_e32 v12, v18, v11
	v_mul_f32_e32 v20, v22, v6
	v_mul_f32_e32 v18, v12, v6
.LBB28_18:                              ;   in Loop: Header=BB28_8 Depth=2
	s_or_b32 exec_lo, exec_lo, s2
	v_cmp_gt_f32_e32 vcc_lo, 0, v20
                                        ; implicit-def: $vgpr12
	s_mov_b32 s2, exec_lo
	v_cndmask_b32_e64 v6, v20, -v20, vcc_lo
	v_cmp_gt_f32_e32 vcc_lo, 0, v18
	v_cndmask_b32_e64 v11, v18, -v18, vcc_lo
	v_cmpx_ngt_f32_e32 v6, v11
	s_xor_b32 s44, exec_lo, s2
	s_cbranch_execnz .LBB28_21
; %bb.19:                               ;   in Loop: Header=BB28_8 Depth=2
	s_andn2_saveexec_b32 s44, s44
	s_cbranch_execnz .LBB28_24
.LBB28_20:                              ;   in Loop: Header=BB28_8 Depth=2
	s_or_b32 exec_lo, exec_lo, s44
	v_cmp_class_f32_e64 s44, v12, 0x1f8
	s_and_saveexec_b32 s2, s44
	s_cbranch_execz .LBB28_7
	s_branch .LBB28_25
.LBB28_21:                              ;   in Loop: Header=BB28_8 Depth=2
	v_mov_b32_e32 v12, 0
	s_mov_b32 s45, exec_lo
	v_cmpx_neq_f32_e32 0, v18
	s_cbranch_execz .LBB28_23
; %bb.22:                               ;   in Loop: Header=BB28_8 Depth=2
	v_div_scale_f32 v12, null, v11, v11, v6
	v_div_scale_f32 v23, vcc_lo, v6, v11, v6
	v_rcp_f32_e32 v21, v12
	v_fma_f32 v22, -v12, v21, 1.0
	v_fmac_f32_e32 v21, v22, v21
	v_mul_f32_e32 v22, v23, v21
	v_fma_f32 v24, -v12, v22, v23
	v_fmac_f32_e32 v22, v24, v21
	v_fma_f32 v12, -v12, v22, v23
	v_div_fmas_f32 v12, v12, v21, v22
	v_div_fixup_f32 v6, v12, v11, v6
	v_fma_f32 v6, v6, v6, 1.0
	v_mul_f32_e32 v12, 0x4f800000, v6
	v_cmp_gt_f32_e32 vcc_lo, 0xf800000, v6
	v_cndmask_b32_e32 v6, v6, v12, vcc_lo
	v_sqrt_f32_e32 v12, v6
	v_add_nc_u32_e32 v21, -1, v12
	v_add_nc_u32_e32 v22, 1, v12
	v_fma_f32 v23, -v21, v12, v6
	v_fma_f32 v24, -v22, v12, v6
	v_cmp_ge_f32_e64 s2, 0, v23
	v_cndmask_b32_e64 v12, v12, v21, s2
	v_cmp_lt_f32_e64 s2, 0, v24
	v_cndmask_b32_e64 v12, v12, v22, s2
	v_mul_f32_e32 v21, 0x37800000, v12
	v_cndmask_b32_e32 v12, v12, v21, vcc_lo
	v_cmp_class_f32_e64 vcc_lo, v6, 0x260
	v_cndmask_b32_e32 v6, v12, v6, vcc_lo
	v_mul_f32_e32 v12, v11, v6
.LBB28_23:                              ;   in Loop: Header=BB28_8 Depth=2
	s_or_b32 exec_lo, exec_lo, s45
                                        ; implicit-def: $vgpr6
                                        ; implicit-def: $vgpr11
	s_andn2_saveexec_b32 s44, s44
	s_cbranch_execz .LBB28_20
.LBB28_24:                              ;   in Loop: Header=BB28_8 Depth=2
	v_div_scale_f32 v12, null, v6, v6, v11
	v_div_scale_f32 v23, vcc_lo, v11, v6, v11
	v_rcp_f32_e32 v21, v12
	v_fma_f32 v22, -v12, v21, 1.0
	v_fmac_f32_e32 v21, v22, v21
	v_mul_f32_e32 v22, v23, v21
	v_fma_f32 v24, -v12, v22, v23
	v_fmac_f32_e32 v22, v24, v21
	v_fma_f32 v12, -v12, v22, v23
	v_div_fmas_f32 v12, v12, v21, v22
	v_div_fixup_f32 v11, v12, v6, v11
	v_fma_f32 v11, v11, v11, 1.0
	v_mul_f32_e32 v12, 0x4f800000, v11
	v_cmp_gt_f32_e32 vcc_lo, 0xf800000, v11
	v_cndmask_b32_e32 v11, v11, v12, vcc_lo
	v_sqrt_f32_e32 v12, v11
	v_add_nc_u32_e32 v21, -1, v12
	v_add_nc_u32_e32 v22, 1, v12
	v_fma_f32 v23, -v21, v12, v11
	v_fma_f32 v24, -v22, v12, v11
	v_cmp_ge_f32_e64 s2, 0, v23
	v_cndmask_b32_e64 v12, v12, v21, s2
	v_cmp_lt_f32_e64 s2, 0, v24
	v_cndmask_b32_e64 v12, v12, v22, s2
	v_mul_f32_e32 v21, 0x37800000, v12
	v_cndmask_b32_e32 v12, v12, v21, vcc_lo
	v_cmp_class_f32_e64 vcc_lo, v11, 0x260
	v_cndmask_b32_e32 v11, v12, v11, vcc_lo
	v_mul_f32_e32 v12, v6, v11
	s_or_b32 exec_lo, exec_lo, s44
	v_cmp_class_f32_e64 s44, v12, 0x1f8
	s_and_saveexec_b32 s2, s44
	s_cbranch_execz .LBB28_7
.LBB28_25:                              ;   in Loop: Header=BB28_8 Depth=2
	s_mov_b32 s44, 0
                                        ; implicit-def: $vgpr11_vgpr12
	s_and_saveexec_b32 s45, s1
	s_xor_b32 s1, exec_lo, s45
	s_cbranch_execnz .LBB28_28
; %bb.26:                               ;   in Loop: Header=BB28_8 Depth=2
	s_andn2_saveexec_b32 s1, s1
	s_cbranch_execnz .LBB28_41
.LBB28_27:                              ;   in Loop: Header=BB28_8 Depth=2
	s_or_b32 exec_lo, exec_lo, s1
	s_and_b32 exec_lo, exec_lo, s44
	s_cbranch_execz .LBB28_7
	s_branch .LBB28_50
.LBB28_28:                              ;   in Loop: Header=BB28_8 Depth=2
	s_mov_b32 s45, exec_lo
                                        ; implicit-def: $vgpr11_vgpr12
	v_cmpx_ge_i32_e64 v0, v7
	s_xor_b32 s45, exec_lo, s45
	s_cbranch_execz .LBB28_30
; %bb.29:                               ;   in Loop: Header=BB28_8 Depth=2
	v_lshlrev_b64 v[6:7], 3, v[7:8]
	s_mov_b32 s44, exec_lo
                                        ; implicit-def: $vgpr10
                                        ; implicit-def: $vgpr19
                                        ; implicit-def: $vgpr9
	v_add_co_u32 v11, vcc_lo, s38, v6
	v_add_co_ci_u32_e64 v12, null, s39, v7, vcc_lo
	global_store_dword v[11:12], v20, off
                                        ; implicit-def: $vgpr20
.LBB28_30:                              ;   in Loop: Header=BB28_8 Depth=2
	s_andn2_saveexec_b32 s45, s45
	s_cbranch_execz .LBB28_40
; %bb.31:                               ;   in Loop: Header=BB28_8 Depth=2
	s_mov_b32 s47, s44
	s_mov_b32 s46, exec_lo
                                        ; implicit-def: $vgpr11_vgpr12
	v_cmpx_lt_i32_e64 v10, v19
	s_cbranch_execz .LBB28_39
; %bb.32:                               ;   in Loop: Header=BB28_8 Depth=2
	s_mov_b32 s48, 0
                                        ; implicit-def: $sgpr47
                                        ; implicit-def: $sgpr50
                                        ; implicit-def: $sgpr49
	s_inst_prefetch 0x1
	s_branch .LBB28_34
	.p2align	6
.LBB28_33:                              ;   in Loop: Header=BB28_34 Depth=3
	s_or_b32 exec_lo, exec_lo, s51
	s_and_b32 s51, exec_lo, s50
	s_or_b32 s48, s51, s48
	s_andn2_b32 s47, s47, exec_lo
	s_and_b32 s51, s49, exec_lo
	s_or_b32 s47, s47, s51
	s_andn2_b32 exec_lo, exec_lo, s48
	s_cbranch_execz .LBB28_36
.LBB28_34:                              ;   Parent Loop BB28_4 Depth=1
                                        ;     Parent Loop BB28_8 Depth=2
                                        ; =>    This Inner Loop Header: Depth=3
	v_add_nc_u32_e32 v6, v9, v10
	s_or_b32 s49, s49, exec_lo
	s_or_b32 s50, s50, exec_lo
	s_mov_b32 s51, exec_lo
	v_ashrrev_i32_e32 v7, 31, v6
	v_lshlrev_b64 v[11:12], 2, v[6:7]
	v_add_co_u32 v11, vcc_lo, s12, v11
	v_add_co_ci_u32_e64 v12, null, s13, v12, vcc_lo
	global_load_dword v1, v[11:12], off
	s_waitcnt vmcnt(0)
	v_subrev_nc_u32_e32 v1, s4, v1
	v_cmpx_ne_u32_e64 v1, v0
	s_cbranch_execz .LBB28_33
; %bb.35:                               ;   in Loop: Header=BB28_34 Depth=3
	v_add_nc_u32_e32 v10, 1, v10
	s_andn2_b32 s50, s50, exec_lo
	s_andn2_b32 s49, s49, exec_lo
	v_cmp_ge_i32_e32 vcc_lo, v10, v19
	s_and_b32 s52, vcc_lo, exec_lo
	s_or_b32 s50, s50, s52
	s_branch .LBB28_33
.LBB28_36:                              ;   in Loop: Header=BB28_8 Depth=2
	s_inst_prefetch 0x2
	s_or_b32 exec_lo, exec_lo, s48
	s_mov_b32 s48, s44
                                        ; implicit-def: $vgpr11_vgpr12
	s_and_saveexec_b32 s49, s47
	s_xor_b32 s47, exec_lo, s49
	s_cbranch_execz .LBB28_38
; %bb.37:                               ;   in Loop: Header=BB28_8 Depth=2
	v_lshlrev_b64 v[6:7], 3, v[6:7]
	s_or_b32 s48, s44, exec_lo
	v_add_co_u32 v11, vcc_lo, s34, v6
	v_add_co_ci_u32_e64 v12, null, s35, v7, vcc_lo
	global_store_dword v[11:12], v20, off
.LBB28_38:                              ;   in Loop: Header=BB28_8 Depth=2
	s_or_b32 exec_lo, exec_lo, s47
	s_andn2_b32 s47, s44, exec_lo
	s_and_b32 s48, s48, exec_lo
	s_or_b32 s47, s47, s48
.LBB28_39:                              ;   in Loop: Header=BB28_8 Depth=2
	s_or_b32 exec_lo, exec_lo, s46
	s_andn2_b32 s44, s44, exec_lo
	s_and_b32 s46, s47, exec_lo
	s_or_b32 s44, s44, s46
.LBB28_40:                              ;   in Loop: Header=BB28_8 Depth=2
	s_or_b32 exec_lo, exec_lo, s45
	s_and_b32 s44, s44, exec_lo
                                        ; implicit-def: $vgpr20
                                        ; implicit-def: $vgpr7_vgpr8
	s_andn2_saveexec_b32 s1, s1
	s_cbranch_execz .LBB28_27
.LBB28_41:                              ;   in Loop: Header=BB28_8 Depth=2
	s_mov_b32 s46, s44
	s_mov_b32 s45, exec_lo
                                        ; implicit-def: $vgpr11_vgpr12
	v_cmpx_lt_i32_e64 v1, v14
	s_cbranch_execz .LBB28_49
; %bb.42:                               ;   in Loop: Header=BB28_8 Depth=2
	s_mov_b32 s47, 0
                                        ; implicit-def: $sgpr46
                                        ; implicit-def: $sgpr49
                                        ; implicit-def: $sgpr48
	s_inst_prefetch 0x1
	s_branch .LBB28_44
	.p2align	6
.LBB28_43:                              ;   in Loop: Header=BB28_44 Depth=3
	s_or_b32 exec_lo, exec_lo, s50
	s_and_b32 s50, exec_lo, s49
	s_or_b32 s47, s50, s47
	s_andn2_b32 s46, s46, exec_lo
	s_and_b32 s50, s48, exec_lo
	s_or_b32 s46, s46, s50
	s_andn2_b32 exec_lo, exec_lo, s47
	s_cbranch_execz .LBB28_46
.LBB28_44:                              ;   Parent Loop BB28_4 Depth=1
                                        ;     Parent Loop BB28_8 Depth=2
                                        ; =>    This Inner Loop Header: Depth=3
	v_add_nc_u32_e32 v8, v3, v1
	s_or_b32 s48, s48, exec_lo
	s_or_b32 s49, s49, exec_lo
	s_mov_b32 s50, exec_lo
	v_ashrrev_i32_e32 v9, 31, v8
	v_lshlrev_b64 v[10:11], 2, v[8:9]
	v_add_co_u32 v10, vcc_lo, s20, v10
	v_add_co_ci_u32_e64 v11, null, s21, v11, vcc_lo
	global_load_dword v6, v[10:11], off
	s_waitcnt vmcnt(0)
	v_subrev_nc_u32_e32 v6, s41, v6
	v_cmpx_ne_u32_e64 v6, v7
	s_cbranch_execz .LBB28_43
; %bb.45:                               ;   in Loop: Header=BB28_44 Depth=3
	v_add_nc_u32_e32 v1, 1, v1
	s_andn2_b32 s49, s49, exec_lo
	s_andn2_b32 s48, s48, exec_lo
	v_cmp_ge_i32_e32 vcc_lo, v1, v14
	s_and_b32 s51, vcc_lo, exec_lo
	s_or_b32 s49, s49, s51
	s_branch .LBB28_43
.LBB28_46:                              ;   in Loop: Header=BB28_8 Depth=2
	s_inst_prefetch 0x2
	s_or_b32 exec_lo, exec_lo, s47
	s_mov_b32 s47, s44
                                        ; implicit-def: $vgpr11_vgpr12
	s_and_saveexec_b32 s48, s46
	s_xor_b32 s46, exec_lo, s48
	s_cbranch_execz .LBB28_48
; %bb.47:                               ;   in Loop: Header=BB28_8 Depth=2
	v_lshlrev_b64 v[6:7], 3, v[8:9]
	s_or_b32 s47, s44, exec_lo
	v_add_co_u32 v11, vcc_lo, s6, v6
	v_add_co_ci_u32_e64 v12, null, s7, v7, vcc_lo
	global_store_dword v[11:12], v20, off
.LBB28_48:                              ;   in Loop: Header=BB28_8 Depth=2
	s_or_b32 exec_lo, exec_lo, s46
	s_andn2_b32 s46, s44, exec_lo
	s_and_b32 s47, s47, exec_lo
	s_or_b32 s46, s46, s47
.LBB28_49:                              ;   in Loop: Header=BB28_8 Depth=2
	s_or_b32 exec_lo, exec_lo, s45
	s_andn2_b32 s44, s44, exec_lo
	s_and_b32 s45, s46, exec_lo
	s_or_b32 s44, s44, s45
	s_or_b32 exec_lo, exec_lo, s1
	s_and_b32 exec_lo, exec_lo, s44
	s_cbranch_execz .LBB28_7
.LBB28_50:                              ;   in Loop: Header=BB28_8 Depth=2
	global_store_dword v[11:12], v18, off offset:4
	s_branch .LBB28_7
.LBB28_51:
	s_endpgm
	.section	.rodata,"a",@progbits
	.p2align	6, 0x0
	.amdhsa_kernel _ZN9rocsparseL17kernel_correctionILi1024ELi1E21rocsparse_complex_numIfEiiEEvT3_T2_PKS4_S6_PKS3_PKT1_21rocsparse_index_base_S6_S6_S8_SB_PS9_SC_S6_S6_S8_SB_SD_SC_SB_SD_
		.amdhsa_group_segment_fixed_size 0
		.amdhsa_private_segment_fixed_size 0
		.amdhsa_kernarg_size 160
		.amdhsa_user_sgpr_count 6
		.amdhsa_user_sgpr_private_segment_buffer 1
		.amdhsa_user_sgpr_dispatch_ptr 0
		.amdhsa_user_sgpr_queue_ptr 0
		.amdhsa_user_sgpr_kernarg_segment_ptr 1
		.amdhsa_user_sgpr_dispatch_id 0
		.amdhsa_user_sgpr_flat_scratch_init 0
		.amdhsa_user_sgpr_private_segment_size 0
		.amdhsa_wavefront_size32 1
		.amdhsa_uses_dynamic_stack 0
		.amdhsa_system_sgpr_private_segment_wavefront_offset 0
		.amdhsa_system_sgpr_workgroup_id_x 1
		.amdhsa_system_sgpr_workgroup_id_y 0
		.amdhsa_system_sgpr_workgroup_id_z 0
		.amdhsa_system_sgpr_workgroup_info 0
		.amdhsa_system_vgpr_workitem_id 0
		.amdhsa_next_free_vgpr 30
		.amdhsa_next_free_sgpr 53
		.amdhsa_reserve_vcc 1
		.amdhsa_reserve_flat_scratch 0
		.amdhsa_float_round_mode_32 0
		.amdhsa_float_round_mode_16_64 0
		.amdhsa_float_denorm_mode_32 3
		.amdhsa_float_denorm_mode_16_64 3
		.amdhsa_dx10_clamp 1
		.amdhsa_ieee_mode 1
		.amdhsa_fp16_overflow 0
		.amdhsa_workgroup_processor_mode 1
		.amdhsa_memory_ordered 1
		.amdhsa_forward_progress 1
		.amdhsa_shared_vgpr_count 0
		.amdhsa_exception_fp_ieee_invalid_op 0
		.amdhsa_exception_fp_denorm_src 0
		.amdhsa_exception_fp_ieee_div_zero 0
		.amdhsa_exception_fp_ieee_overflow 0
		.amdhsa_exception_fp_ieee_underflow 0
		.amdhsa_exception_fp_ieee_inexact 0
		.amdhsa_exception_int_div_zero 0
	.end_amdhsa_kernel
	.section	.text._ZN9rocsparseL17kernel_correctionILi1024ELi1E21rocsparse_complex_numIfEiiEEvT3_T2_PKS4_S6_PKS3_PKT1_21rocsparse_index_base_S6_S6_S8_SB_PS9_SC_S6_S6_S8_SB_SD_SC_SB_SD_,"axG",@progbits,_ZN9rocsparseL17kernel_correctionILi1024ELi1E21rocsparse_complex_numIfEiiEEvT3_T2_PKS4_S6_PKS3_PKT1_21rocsparse_index_base_S6_S6_S8_SB_PS9_SC_S6_S6_S8_SB_SD_SC_SB_SD_,comdat
.Lfunc_end28:
	.size	_ZN9rocsparseL17kernel_correctionILi1024ELi1E21rocsparse_complex_numIfEiiEEvT3_T2_PKS4_S6_PKS3_PKT1_21rocsparse_index_base_S6_S6_S8_SB_PS9_SC_S6_S6_S8_SB_SD_SC_SB_SD_, .Lfunc_end28-_ZN9rocsparseL17kernel_correctionILi1024ELi1E21rocsparse_complex_numIfEiiEEvT3_T2_PKS4_S6_PKS3_PKT1_21rocsparse_index_base_S6_S6_S8_SB_PS9_SC_S6_S6_S8_SB_SD_SC_SB_SD_
                                        ; -- End function
	.set _ZN9rocsparseL17kernel_correctionILi1024ELi1E21rocsparse_complex_numIfEiiEEvT3_T2_PKS4_S6_PKS3_PKT1_21rocsparse_index_base_S6_S6_S8_SB_PS9_SC_S6_S6_S8_SB_SD_SC_SB_SD_.num_vgpr, 30
	.set _ZN9rocsparseL17kernel_correctionILi1024ELi1E21rocsparse_complex_numIfEiiEEvT3_T2_PKS4_S6_PKS3_PKT1_21rocsparse_index_base_S6_S6_S8_SB_PS9_SC_S6_S6_S8_SB_SD_SC_SB_SD_.num_agpr, 0
	.set _ZN9rocsparseL17kernel_correctionILi1024ELi1E21rocsparse_complex_numIfEiiEEvT3_T2_PKS4_S6_PKS3_PKT1_21rocsparse_index_base_S6_S6_S8_SB_PS9_SC_S6_S6_S8_SB_SD_SC_SB_SD_.numbered_sgpr, 53
	.set _ZN9rocsparseL17kernel_correctionILi1024ELi1E21rocsparse_complex_numIfEiiEEvT3_T2_PKS4_S6_PKS3_PKT1_21rocsparse_index_base_S6_S6_S8_SB_PS9_SC_S6_S6_S8_SB_SD_SC_SB_SD_.num_named_barrier, 0
	.set _ZN9rocsparseL17kernel_correctionILi1024ELi1E21rocsparse_complex_numIfEiiEEvT3_T2_PKS4_S6_PKS3_PKT1_21rocsparse_index_base_S6_S6_S8_SB_PS9_SC_S6_S6_S8_SB_SD_SC_SB_SD_.private_seg_size, 0
	.set _ZN9rocsparseL17kernel_correctionILi1024ELi1E21rocsparse_complex_numIfEiiEEvT3_T2_PKS4_S6_PKS3_PKT1_21rocsparse_index_base_S6_S6_S8_SB_PS9_SC_S6_S6_S8_SB_SD_SC_SB_SD_.uses_vcc, 1
	.set _ZN9rocsparseL17kernel_correctionILi1024ELi1E21rocsparse_complex_numIfEiiEEvT3_T2_PKS4_S6_PKS3_PKT1_21rocsparse_index_base_S6_S6_S8_SB_PS9_SC_S6_S6_S8_SB_SD_SC_SB_SD_.uses_flat_scratch, 0
	.set _ZN9rocsparseL17kernel_correctionILi1024ELi1E21rocsparse_complex_numIfEiiEEvT3_T2_PKS4_S6_PKS3_PKT1_21rocsparse_index_base_S6_S6_S8_SB_PS9_SC_S6_S6_S8_SB_SD_SC_SB_SD_.has_dyn_sized_stack, 0
	.set _ZN9rocsparseL17kernel_correctionILi1024ELi1E21rocsparse_complex_numIfEiiEEvT3_T2_PKS4_S6_PKS3_PKT1_21rocsparse_index_base_S6_S6_S8_SB_PS9_SC_S6_S6_S8_SB_SD_SC_SB_SD_.has_recursion, 0
	.set _ZN9rocsparseL17kernel_correctionILi1024ELi1E21rocsparse_complex_numIfEiiEEvT3_T2_PKS4_S6_PKS3_PKT1_21rocsparse_index_base_S6_S6_S8_SB_PS9_SC_S6_S6_S8_SB_SD_SC_SB_SD_.has_indirect_call, 0
	.section	.AMDGPU.csdata,"",@progbits
; Kernel info:
; codeLenInByte = 2428
; TotalNumSgprs: 55
; NumVgprs: 30
; ScratchSize: 0
; MemoryBound: 0
; FloatMode: 240
; IeeeMode: 1
; LDSByteSize: 0 bytes/workgroup (compile time only)
; SGPRBlocks: 0
; VGPRBlocks: 3
; NumSGPRsForWavesPerEU: 55
; NumVGPRsForWavesPerEU: 30
; Occupancy: 16
; WaveLimiterHint : 1
; COMPUTE_PGM_RSRC2:SCRATCH_EN: 0
; COMPUTE_PGM_RSRC2:USER_SGPR: 6
; COMPUTE_PGM_RSRC2:TRAP_HANDLER: 0
; COMPUTE_PGM_RSRC2:TGID_X_EN: 1
; COMPUTE_PGM_RSRC2:TGID_Y_EN: 0
; COMPUTE_PGM_RSRC2:TGID_Z_EN: 0
; COMPUTE_PGM_RSRC2:TIDIG_COMP_CNT: 0
	.section	.text._ZN9rocsparseL17kernel_correctionILi1024ELi2E21rocsparse_complex_numIfEiiEEvT3_T2_PKS4_S6_PKS3_PKT1_21rocsparse_index_base_S6_S6_S8_SB_PS9_SC_S6_S6_S8_SB_SD_SC_SB_SD_,"axG",@progbits,_ZN9rocsparseL17kernel_correctionILi1024ELi2E21rocsparse_complex_numIfEiiEEvT3_T2_PKS4_S6_PKS3_PKT1_21rocsparse_index_base_S6_S6_S8_SB_PS9_SC_S6_S6_S8_SB_SD_SC_SB_SD_,comdat
	.globl	_ZN9rocsparseL17kernel_correctionILi1024ELi2E21rocsparse_complex_numIfEiiEEvT3_T2_PKS4_S6_PKS3_PKT1_21rocsparse_index_base_S6_S6_S8_SB_PS9_SC_S6_S6_S8_SB_SD_SC_SB_SD_ ; -- Begin function _ZN9rocsparseL17kernel_correctionILi1024ELi2E21rocsparse_complex_numIfEiiEEvT3_T2_PKS4_S6_PKS3_PKT1_21rocsparse_index_base_S6_S6_S8_SB_PS9_SC_S6_S6_S8_SB_SD_SC_SB_SD_
	.p2align	8
	.type	_ZN9rocsparseL17kernel_correctionILi1024ELi2E21rocsparse_complex_numIfEiiEEvT3_T2_PKS4_S6_PKS3_PKT1_21rocsparse_index_base_S6_S6_S8_SB_PS9_SC_S6_S6_S8_SB_SD_SC_SB_SD_,@function
_ZN9rocsparseL17kernel_correctionILi1024ELi2E21rocsparse_complex_numIfEiiEEvT3_T2_PKS4_S6_PKS3_PKT1_21rocsparse_index_base_S6_S6_S8_SB_PS9_SC_S6_S6_S8_SB_SD_SC_SB_SD_: ; @_ZN9rocsparseL17kernel_correctionILi1024ELi2E21rocsparse_complex_numIfEiiEEvT3_T2_PKS4_S6_PKS3_PKT1_21rocsparse_index_base_S6_S6_S8_SB_PS9_SC_S6_S6_S8_SB_SD_SC_SB_SD_
; %bb.0:
	s_load_dword s3, s[4:5], 0x0
	v_lshrrev_b32_e32 v1, 1, v0
	s_lshl_b32 s33, s6, 10
	s_mov_b32 s0, exec_lo
	v_or_b32_e32 v1, s33, v1
	s_waitcnt lgkmcnt(0)
	v_cmpx_gt_i32_e64 s3, v1
	s_cbranch_execz .LBB29_51
; %bb.1:
	s_addk_i32 s33, 0x400
	v_cmp_gt_u32_e32 vcc_lo, s33, v1
	s_and_b32 exec_lo, exec_lo, vcc_lo
	s_cbranch_execz .LBB29_51
; %bb.2:
	s_clause 0x8
	s_load_dwordx4 s[36:39], s[4:5], 0x90
	s_load_dwordx8 s[8:15], s[4:5], 0x60
	s_load_dword s40, s[4:5], 0x28
	s_load_dwordx8 s[16:23], s[4:5], 0x30
	s_load_dwordx8 s[24:31], s[4:5], 0x8
	s_load_dwordx2 s[6:7], s[4:5], 0x50
	s_load_dword s41, s[4:5], 0x58
	s_load_dwordx2 s[34:35], s[4:5], 0x80
	s_load_dword s4, s[4:5], 0x88
	v_and_b32_e32 v0, 1, v0
	v_mov_b32_e32 v3, 0
	s_mov_b32 s5, 0
	s_waitcnt lgkmcnt(0)
	v_subrev_nc_u32_e32 v0, s40, v0
	s_branch .LBB29_4
.LBB29_3:                               ;   in Loop: Header=BB29_4 Depth=1
	s_or_b32 exec_lo, exec_lo, s42
	v_add_nc_u32_e32 v1, 0x200, v1
	v_cmp_le_u32_e32 vcc_lo, s33, v1
	s_or_b32 s5, vcc_lo, s5
	s_andn2_b32 exec_lo, exec_lo, s5
	s_cbranch_execz .LBB29_51
.LBB29_4:                               ; =>This Loop Header: Depth=1
                                        ;     Child Loop BB29_8 Depth 2
                                        ;       Child Loop BB29_12 Depth 3
                                        ;       Child Loop BB29_34 Depth 3
	;; [unrolled: 1-line block ×3, first 2 shown]
	s_mov_b32 s42, exec_lo
	v_cmpx_gt_i32_e64 s3, v1
	s_cbranch_execz .LBB29_3
; %bb.5:                                ;   in Loop: Header=BB29_4 Depth=1
	v_ashrrev_i32_e32 v2, 31, v1
	v_lshlrev_b64 v[5:6], 2, v[1:2]
	v_add_co_u32 v7, vcc_lo, s24, v5
	v_add_co_ci_u32_e64 v8, null, s25, v6, vcc_lo
	v_add_co_u32 v9, vcc_lo, s26, v5
	v_add_co_ci_u32_e64 v10, null, s27, v6, vcc_lo
	global_load_dword v2, v[7:8], off
	global_load_dword v7, v[9:10], off
	s_waitcnt vmcnt(1)
	v_add_nc_u32_e32 v4, v0, v2
	s_waitcnt vmcnt(0)
	v_subrev_nc_u32_e32 v13, s40, v7
	v_cmp_lt_i32_e32 vcc_lo, v4, v13
	s_and_b32 exec_lo, exec_lo, vcc_lo
	s_cbranch_execz .LBB29_3
; %bb.6:                                ;   in Loop: Header=BB29_4 Depth=1
	v_add_co_u32 v7, vcc_lo, s16, v5
	v_add_co_ci_u32_e64 v8, null, s17, v6, vcc_lo
	v_add_co_u32 v5, vcc_lo, s18, v5
	v_add_co_ci_u32_e64 v6, null, s19, v6, vcc_lo
	global_load_dword v2, v[7:8], off
	s_mov_b32 s43, 0
	global_load_dword v5, v[5:6], off
	s_waitcnt vmcnt(1)
	v_subrev_nc_u32_e32 v6, s41, v2
	s_waitcnt vmcnt(0)
	v_sub_nc_u32_e32 v14, v5, v2
	v_ashrrev_i32_e32 v7, 31, v6
	v_cmp_lt_i32_e64 s0, 0, v14
	v_lshlrev_b64 v[8:9], 2, v[6:7]
	v_lshlrev_b64 v[10:11], 3, v[6:7]
	v_add_co_u32 v15, vcc_lo, s20, v8
	v_add_co_ci_u32_e64 v16, null, s21, v9, vcc_lo
	v_add_co_u32 v17, vcc_lo, s22, v10
	v_add_co_ci_u32_e64 v18, null, s23, v11, vcc_lo
	s_branch .LBB29_8
.LBB29_7:                               ;   in Loop: Header=BB29_8 Depth=2
	s_or_b32 exec_lo, exec_lo, s2
	v_add_nc_u32_e32 v4, 2, v4
	v_cmp_ge_i32_e32 vcc_lo, v4, v13
	s_or_b32 s43, vcc_lo, s43
	s_andn2_b32 exec_lo, exec_lo, s43
	s_cbranch_execz .LBB29_3
.LBB29_8:                               ;   Parent Loop BB29_4 Depth=1
                                        ; =>  This Loop Header: Depth=2
                                        ;       Child Loop BB29_12 Depth 3
                                        ;       Child Loop BB29_34 Depth 3
	;; [unrolled: 1-line block ×3, first 2 shown]
	v_ashrrev_i32_e32 v5, 31, v4
	v_mov_b32_e32 v21, 0
	v_lshlrev_b64 v[7:8], 2, v[4:5]
	v_add_co_u32 v7, vcc_lo, s28, v7
	v_add_co_ci_u32_e64 v8, null, s29, v8, vcc_lo
	global_load_dword v2, v[7:8], off
	s_waitcnt vmcnt(0)
	v_subrev_nc_u32_e32 v7, s40, v2
	v_mov_b32_e32 v2, 0
	v_ashrrev_i32_e32 v8, 31, v7
	v_lshlrev_b64 v[9:10], 2, v[7:8]
	v_add_co_u32 v11, vcc_lo, s8, v9
	v_add_co_ci_u32_e64 v12, null, s9, v10, vcc_lo
	v_add_co_u32 v9, vcc_lo, s10, v9
	v_add_co_ci_u32_e64 v10, null, s11, v10, vcc_lo
	global_load_dword v11, v[11:12], off
	global_load_dword v10, v[9:10], off
	v_mov_b32_e32 v12, 0
	s_waitcnt vmcnt(1)
	v_subrev_nc_u32_e32 v9, s4, v11
	s_waitcnt vmcnt(0)
	v_sub_nc_u32_e32 v19, v10, v11
	v_mov_b32_e32 v10, v2
	s_and_saveexec_b32 s2, s0
	s_cbranch_execz .LBB29_16
; %bb.9:                                ;   in Loop: Header=BB29_8 Depth=2
	v_ashrrev_i32_e32 v10, 31, v9
	v_mov_b32_e32 v12, 0
	v_mov_b32_e32 v2, 0
	s_mov_b32 s44, 0
                                        ; implicit-def: $sgpr45
	v_lshlrev_b64 v[20:21], 2, v[9:10]
	v_lshlrev_b64 v[10:11], 3, v[9:10]
	v_add_co_u32 v20, vcc_lo, s12, v20
	v_add_co_ci_u32_e64 v22, null, s13, v21, vcc_lo
	v_add_co_u32 v23, vcc_lo, s14, v10
	v_add_co_ci_u32_e64 v24, null, s15, v11, vcc_lo
	v_mov_b32_e32 v10, 0
	v_mov_b32_e32 v21, 0
	s_branch .LBB29_12
.LBB29_10:                              ;   in Loop: Header=BB29_12 Depth=3
	s_or_b32 exec_lo, exec_lo, s1
	v_cmp_le_i32_e32 vcc_lo, v25, v26
	v_cmp_ge_i32_e64 s1, v25, v26
	v_add_co_ci_u32_e64 v2, null, 0, v2, vcc_lo
	v_add_co_ci_u32_e64 v10, null, 0, v10, s1
	s_andn2_b32 s1, s45, exec_lo
	v_cmp_ge_i32_e32 vcc_lo, v2, v14
	s_and_b32 s45, vcc_lo, exec_lo
	s_or_b32 s45, s1, s45
.LBB29_11:                              ;   in Loop: Header=BB29_12 Depth=3
	s_or_b32 exec_lo, exec_lo, s46
	s_and_b32 s1, exec_lo, s45
	s_or_b32 s44, s1, s44
	s_andn2_b32 exec_lo, exec_lo, s44
	s_cbranch_execz .LBB29_15
.LBB29_12:                              ;   Parent Loop BB29_4 Depth=1
                                        ;     Parent Loop BB29_8 Depth=2
                                        ; =>    This Inner Loop Header: Depth=3
	s_or_b32 s45, s45, exec_lo
	s_mov_b32 s46, exec_lo
	v_cmpx_lt_i32_e64 v10, v19
	s_cbranch_execz .LBB29_11
; %bb.13:                               ;   in Loop: Header=BB29_12 Depth=3
	v_mov_b32_e32 v11, v3
	v_lshlrev_b64 v[25:26], 2, v[2:3]
	s_mov_b32 s1, exec_lo
	v_lshlrev_b64 v[27:28], 2, v[10:11]
	v_add_co_u32 v25, vcc_lo, v15, v25
	v_add_co_ci_u32_e64 v26, null, v16, v26, vcc_lo
	v_add_co_u32 v27, vcc_lo, v20, v27
	v_add_co_ci_u32_e64 v28, null, v22, v28, vcc_lo
	global_load_dword v25, v[25:26], off
	global_load_dword v26, v[27:28], off
	s_waitcnt vmcnt(1)
	v_subrev_nc_u32_e32 v25, s41, v25
	s_waitcnt vmcnt(0)
	v_subrev_nc_u32_e32 v26, s4, v26
	v_cmpx_eq_u32_e64 v25, v26
	s_cbranch_execz .LBB29_10
; %bb.14:                               ;   in Loop: Header=BB29_12 Depth=3
	v_lshlrev_b64 v[27:28], 3, v[2:3]
	v_lshlrev_b64 v[29:30], 3, v[10:11]
	v_add_co_u32 v27, vcc_lo, v17, v27
	v_add_co_ci_u32_e64 v28, null, v18, v28, vcc_lo
	v_add_co_u32 v29, vcc_lo, v23, v29
	v_add_co_ci_u32_e64 v30, null, v24, v30, vcc_lo
	global_load_dwordx2 v[27:28], v[27:28], off
	global_load_dwordx2 v[29:30], v[29:30], off
	s_waitcnt vmcnt(0)
	v_fmac_f32_e32 v12, v27, v29
	v_fmac_f32_e32 v21, v28, v29
	v_fma_f32 v12, -v28, v30, v12
	v_fmac_f32_e32 v21, v27, v30
	s_branch .LBB29_10
.LBB29_15:                              ;   in Loop: Header=BB29_8 Depth=2
	s_or_b32 exec_lo, exec_lo, s44
.LBB29_16:                              ;   in Loop: Header=BB29_8 Depth=2
	s_or_b32 exec_lo, exec_lo, s2
	v_lshlrev_b64 v[22:23], 3, v[4:5]
	v_cmp_le_i32_e64 s1, v1, v7
	s_mov_b32 s2, exec_lo
	v_add_co_u32 v22, vcc_lo, s30, v22
	v_add_co_ci_u32_e64 v23, null, s31, v23, vcc_lo
	global_load_dwordx2 v[22:23], v[22:23], off
	s_waitcnt vmcnt(0)
	v_sub_f32_e32 v20, v22, v12
	v_sub_f32_e32 v5, v23, v21
	v_cmpx_gt_i32_e64 v1, v7
	s_cbranch_execz .LBB29_18
; %bb.17:                               ;   in Loop: Header=BB29_8 Depth=2
	v_lshlrev_b64 v[11:12], 3, v[7:8]
	v_add_co_u32 v11, vcc_lo, s36, v11
	v_add_co_ci_u32_e64 v12, null, s37, v12, vcc_lo
	global_load_dwordx2 v[11:12], v[11:12], off
	s_waitcnt vmcnt(0)
	v_mul_f32_e32 v21, v12, v12
	v_fmac_f32_e32 v21, v11, v11
	v_div_scale_f32 v22, null, v21, v21, 1.0
	v_div_scale_f32 v25, vcc_lo, 1.0, v21, 1.0
	v_rcp_f32_e32 v23, v22
	v_fma_f32 v24, -v22, v23, 1.0
	v_fmac_f32_e32 v23, v24, v23
	v_mul_f32_e32 v24, v25, v23
	v_fma_f32 v26, -v22, v24, v25
	v_fmac_f32_e32 v24, v26, v23
	v_fma_f32 v22, -v22, v24, v25
	v_div_fmas_f32 v22, v22, v23, v24
	v_mul_f32_e32 v23, v5, v12
	v_mul_f32_e64 v12, v12, -v20
	v_div_fixup_f32 v21, v22, v21, 1.0
	v_fmac_f32_e32 v23, v20, v11
	v_fmac_f32_e32 v12, v5, v11
	v_mul_f32_e32 v20, v23, v21
	v_mul_f32_e32 v5, v12, v21
.LBB29_18:                              ;   in Loop: Header=BB29_8 Depth=2
	s_or_b32 exec_lo, exec_lo, s2
	v_cmp_gt_f32_e32 vcc_lo, 0, v20
                                        ; implicit-def: $vgpr21
	s_mov_b32 s2, exec_lo
	v_cndmask_b32_e64 v11, v20, -v20, vcc_lo
	v_cmp_gt_f32_e32 vcc_lo, 0, v5
	v_cndmask_b32_e64 v12, v5, -v5, vcc_lo
	v_cmpx_ngt_f32_e32 v11, v12
	s_xor_b32 s44, exec_lo, s2
	s_cbranch_execnz .LBB29_21
; %bb.19:                               ;   in Loop: Header=BB29_8 Depth=2
	s_andn2_saveexec_b32 s44, s44
	s_cbranch_execnz .LBB29_24
.LBB29_20:                              ;   in Loop: Header=BB29_8 Depth=2
	s_or_b32 exec_lo, exec_lo, s44
	v_cmp_class_f32_e64 s44, v21, 0x1f8
	s_and_saveexec_b32 s2, s44
	s_cbranch_execz .LBB29_7
	s_branch .LBB29_25
.LBB29_21:                              ;   in Loop: Header=BB29_8 Depth=2
	v_mov_b32_e32 v21, 0
	s_mov_b32 s45, exec_lo
	v_cmpx_neq_f32_e32 0, v5
	s_cbranch_execz .LBB29_23
; %bb.22:                               ;   in Loop: Header=BB29_8 Depth=2
	v_div_scale_f32 v21, null, v12, v12, v11
	v_div_scale_f32 v24, vcc_lo, v11, v12, v11
	v_rcp_f32_e32 v22, v21
	v_fma_f32 v23, -v21, v22, 1.0
	v_fmac_f32_e32 v22, v23, v22
	v_mul_f32_e32 v23, v24, v22
	v_fma_f32 v25, -v21, v23, v24
	v_fmac_f32_e32 v23, v25, v22
	v_fma_f32 v21, -v21, v23, v24
	v_div_fmas_f32 v21, v21, v22, v23
	v_div_fixup_f32 v11, v21, v12, v11
	v_fma_f32 v11, v11, v11, 1.0
	v_mul_f32_e32 v21, 0x4f800000, v11
	v_cmp_gt_f32_e32 vcc_lo, 0xf800000, v11
	v_cndmask_b32_e32 v11, v11, v21, vcc_lo
	v_sqrt_f32_e32 v21, v11
	v_add_nc_u32_e32 v22, -1, v21
	v_add_nc_u32_e32 v23, 1, v21
	v_fma_f32 v24, -v22, v21, v11
	v_fma_f32 v25, -v23, v21, v11
	v_cmp_ge_f32_e64 s2, 0, v24
	v_cndmask_b32_e64 v21, v21, v22, s2
	v_cmp_lt_f32_e64 s2, 0, v25
	v_cndmask_b32_e64 v21, v21, v23, s2
	v_mul_f32_e32 v22, 0x37800000, v21
	v_cndmask_b32_e32 v21, v21, v22, vcc_lo
	v_cmp_class_f32_e64 vcc_lo, v11, 0x260
	v_cndmask_b32_e32 v11, v21, v11, vcc_lo
	v_mul_f32_e32 v21, v12, v11
.LBB29_23:                              ;   in Loop: Header=BB29_8 Depth=2
	s_or_b32 exec_lo, exec_lo, s45
                                        ; implicit-def: $vgpr11
                                        ; implicit-def: $vgpr12
	s_andn2_saveexec_b32 s44, s44
	s_cbranch_execz .LBB29_20
.LBB29_24:                              ;   in Loop: Header=BB29_8 Depth=2
	v_div_scale_f32 v21, null, v11, v11, v12
	v_div_scale_f32 v24, vcc_lo, v12, v11, v12
	v_rcp_f32_e32 v22, v21
	v_fma_f32 v23, -v21, v22, 1.0
	v_fmac_f32_e32 v22, v23, v22
	v_mul_f32_e32 v23, v24, v22
	v_fma_f32 v25, -v21, v23, v24
	v_fmac_f32_e32 v23, v25, v22
	v_fma_f32 v21, -v21, v23, v24
	v_div_fmas_f32 v21, v21, v22, v23
	v_div_fixup_f32 v12, v21, v11, v12
	v_fma_f32 v12, v12, v12, 1.0
	v_mul_f32_e32 v21, 0x4f800000, v12
	v_cmp_gt_f32_e32 vcc_lo, 0xf800000, v12
	v_cndmask_b32_e32 v12, v12, v21, vcc_lo
	v_sqrt_f32_e32 v21, v12
	v_add_nc_u32_e32 v22, -1, v21
	v_add_nc_u32_e32 v23, 1, v21
	v_fma_f32 v24, -v22, v21, v12
	v_fma_f32 v25, -v23, v21, v12
	v_cmp_ge_f32_e64 s2, 0, v24
	v_cndmask_b32_e64 v21, v21, v22, s2
	v_cmp_lt_f32_e64 s2, 0, v25
	v_cndmask_b32_e64 v21, v21, v23, s2
	v_mul_f32_e32 v22, 0x37800000, v21
	v_cndmask_b32_e32 v21, v21, v22, vcc_lo
	v_cmp_class_f32_e64 vcc_lo, v12, 0x260
	v_cndmask_b32_e32 v12, v21, v12, vcc_lo
	v_mul_f32_e32 v21, v11, v12
	s_or_b32 exec_lo, exec_lo, s44
	v_cmp_class_f32_e64 s44, v21, 0x1f8
	s_and_saveexec_b32 s2, s44
	s_cbranch_execz .LBB29_7
.LBB29_25:                              ;   in Loop: Header=BB29_8 Depth=2
	s_mov_b32 s44, 0
                                        ; implicit-def: $vgpr11_vgpr12
	s_and_saveexec_b32 s45, s1
	s_xor_b32 s1, exec_lo, s45
	s_cbranch_execnz .LBB29_28
; %bb.26:                               ;   in Loop: Header=BB29_8 Depth=2
	s_andn2_saveexec_b32 s1, s1
	s_cbranch_execnz .LBB29_41
.LBB29_27:                              ;   in Loop: Header=BB29_8 Depth=2
	s_or_b32 exec_lo, exec_lo, s1
	s_and_b32 exec_lo, exec_lo, s44
	s_cbranch_execz .LBB29_7
	s_branch .LBB29_50
.LBB29_28:                              ;   in Loop: Header=BB29_8 Depth=2
	s_mov_b32 s45, exec_lo
                                        ; implicit-def: $vgpr11_vgpr12
	v_cmpx_ge_i32_e64 v1, v7
	s_xor_b32 s45, exec_lo, s45
	s_cbranch_execz .LBB29_30
; %bb.29:                               ;   in Loop: Header=BB29_8 Depth=2
	v_lshlrev_b64 v[7:8], 3, v[7:8]
	s_mov_b32 s44, exec_lo
                                        ; implicit-def: $vgpr10
                                        ; implicit-def: $vgpr19
                                        ; implicit-def: $vgpr9
	v_add_co_u32 v11, vcc_lo, s38, v7
	v_add_co_ci_u32_e64 v12, null, s39, v8, vcc_lo
	global_store_dword v[11:12], v20, off
                                        ; implicit-def: $vgpr20
.LBB29_30:                              ;   in Loop: Header=BB29_8 Depth=2
	s_andn2_saveexec_b32 s45, s45
	s_cbranch_execz .LBB29_40
; %bb.31:                               ;   in Loop: Header=BB29_8 Depth=2
	s_mov_b32 s47, s44
	s_mov_b32 s46, exec_lo
                                        ; implicit-def: $vgpr11_vgpr12
	v_cmpx_lt_i32_e64 v10, v19
	s_cbranch_execz .LBB29_39
; %bb.32:                               ;   in Loop: Header=BB29_8 Depth=2
	s_mov_b32 s48, 0
                                        ; implicit-def: $sgpr47
                                        ; implicit-def: $sgpr50
                                        ; implicit-def: $sgpr49
	s_inst_prefetch 0x1
	s_branch .LBB29_34
	.p2align	6
.LBB29_33:                              ;   in Loop: Header=BB29_34 Depth=3
	s_or_b32 exec_lo, exec_lo, s51
	s_and_b32 s51, exec_lo, s50
	s_or_b32 s48, s51, s48
	s_andn2_b32 s47, s47, exec_lo
	s_and_b32 s51, s49, exec_lo
	s_or_b32 s47, s47, s51
	s_andn2_b32 exec_lo, exec_lo, s48
	s_cbranch_execz .LBB29_36
.LBB29_34:                              ;   Parent Loop BB29_4 Depth=1
                                        ;     Parent Loop BB29_8 Depth=2
                                        ; =>    This Inner Loop Header: Depth=3
	v_add_nc_u32_e32 v7, v9, v10
	s_or_b32 s49, s49, exec_lo
	s_or_b32 s50, s50, exec_lo
	s_mov_b32 s51, exec_lo
	v_ashrrev_i32_e32 v8, 31, v7
	v_lshlrev_b64 v[11:12], 2, v[7:8]
	v_add_co_u32 v11, vcc_lo, s12, v11
	v_add_co_ci_u32_e64 v12, null, s13, v12, vcc_lo
	global_load_dword v2, v[11:12], off
	s_waitcnt vmcnt(0)
	v_subrev_nc_u32_e32 v2, s4, v2
	v_cmpx_ne_u32_e64 v2, v1
	s_cbranch_execz .LBB29_33
; %bb.35:                               ;   in Loop: Header=BB29_34 Depth=3
	v_add_nc_u32_e32 v10, 1, v10
	s_andn2_b32 s50, s50, exec_lo
	s_andn2_b32 s49, s49, exec_lo
	v_cmp_ge_i32_e32 vcc_lo, v10, v19
	s_and_b32 s52, vcc_lo, exec_lo
	s_or_b32 s50, s50, s52
	s_branch .LBB29_33
.LBB29_36:                              ;   in Loop: Header=BB29_8 Depth=2
	s_inst_prefetch 0x2
	s_or_b32 exec_lo, exec_lo, s48
	s_mov_b32 s48, s44
                                        ; implicit-def: $vgpr11_vgpr12
	s_and_saveexec_b32 s49, s47
	s_xor_b32 s47, exec_lo, s49
	s_cbranch_execz .LBB29_38
; %bb.37:                               ;   in Loop: Header=BB29_8 Depth=2
	v_lshlrev_b64 v[7:8], 3, v[7:8]
	s_or_b32 s48, s44, exec_lo
	v_add_co_u32 v11, vcc_lo, s34, v7
	v_add_co_ci_u32_e64 v12, null, s35, v8, vcc_lo
	global_store_dword v[11:12], v20, off
.LBB29_38:                              ;   in Loop: Header=BB29_8 Depth=2
	s_or_b32 exec_lo, exec_lo, s47
	s_andn2_b32 s47, s44, exec_lo
	s_and_b32 s48, s48, exec_lo
	s_or_b32 s47, s47, s48
.LBB29_39:                              ;   in Loop: Header=BB29_8 Depth=2
	s_or_b32 exec_lo, exec_lo, s46
	s_andn2_b32 s44, s44, exec_lo
	s_and_b32 s46, s47, exec_lo
	s_or_b32 s44, s44, s46
.LBB29_40:                              ;   in Loop: Header=BB29_8 Depth=2
	s_or_b32 exec_lo, exec_lo, s45
	s_and_b32 s44, s44, exec_lo
                                        ; implicit-def: $vgpr20
                                        ; implicit-def: $vgpr7_vgpr8
	s_andn2_saveexec_b32 s1, s1
	s_cbranch_execz .LBB29_27
.LBB29_41:                              ;   in Loop: Header=BB29_8 Depth=2
	s_mov_b32 s46, s44
	s_mov_b32 s45, exec_lo
                                        ; implicit-def: $vgpr11_vgpr12
	v_cmpx_lt_i32_e64 v2, v14
	s_cbranch_execz .LBB29_49
; %bb.42:                               ;   in Loop: Header=BB29_8 Depth=2
	s_mov_b32 s47, 0
                                        ; implicit-def: $sgpr46
                                        ; implicit-def: $sgpr49
                                        ; implicit-def: $sgpr48
	s_inst_prefetch 0x1
	s_branch .LBB29_44
	.p2align	6
.LBB29_43:                              ;   in Loop: Header=BB29_44 Depth=3
	s_or_b32 exec_lo, exec_lo, s50
	s_and_b32 s50, exec_lo, s49
	s_or_b32 s47, s50, s47
	s_andn2_b32 s46, s46, exec_lo
	s_and_b32 s50, s48, exec_lo
	s_or_b32 s46, s46, s50
	s_andn2_b32 exec_lo, exec_lo, s47
	s_cbranch_execz .LBB29_46
.LBB29_44:                              ;   Parent Loop BB29_4 Depth=1
                                        ;     Parent Loop BB29_8 Depth=2
                                        ; =>    This Inner Loop Header: Depth=3
	v_add_nc_u32_e32 v8, v6, v2
	s_or_b32 s48, s48, exec_lo
	s_or_b32 s49, s49, exec_lo
	s_mov_b32 s50, exec_lo
	v_ashrrev_i32_e32 v9, 31, v8
	v_lshlrev_b64 v[10:11], 2, v[8:9]
	v_add_co_u32 v10, vcc_lo, s20, v10
	v_add_co_ci_u32_e64 v11, null, s21, v11, vcc_lo
	global_load_dword v10, v[10:11], off
	s_waitcnt vmcnt(0)
	v_subrev_nc_u32_e32 v10, s41, v10
	v_cmpx_ne_u32_e64 v10, v7
	s_cbranch_execz .LBB29_43
; %bb.45:                               ;   in Loop: Header=BB29_44 Depth=3
	v_add_nc_u32_e32 v2, 1, v2
	s_andn2_b32 s49, s49, exec_lo
	s_andn2_b32 s48, s48, exec_lo
	v_cmp_ge_i32_e32 vcc_lo, v2, v14
	s_and_b32 s51, vcc_lo, exec_lo
	s_or_b32 s49, s49, s51
	s_branch .LBB29_43
.LBB29_46:                              ;   in Loop: Header=BB29_8 Depth=2
	s_inst_prefetch 0x2
	s_or_b32 exec_lo, exec_lo, s47
	s_mov_b32 s47, s44
                                        ; implicit-def: $vgpr11_vgpr12
	s_and_saveexec_b32 s48, s46
	s_xor_b32 s46, exec_lo, s48
	s_cbranch_execz .LBB29_48
; %bb.47:                               ;   in Loop: Header=BB29_8 Depth=2
	v_lshlrev_b64 v[7:8], 3, v[8:9]
	s_or_b32 s47, s44, exec_lo
	v_add_co_u32 v11, vcc_lo, s6, v7
	v_add_co_ci_u32_e64 v12, null, s7, v8, vcc_lo
	global_store_dword v[11:12], v20, off
.LBB29_48:                              ;   in Loop: Header=BB29_8 Depth=2
	s_or_b32 exec_lo, exec_lo, s46
	s_andn2_b32 s46, s44, exec_lo
	s_and_b32 s47, s47, exec_lo
	s_or_b32 s46, s46, s47
.LBB29_49:                              ;   in Loop: Header=BB29_8 Depth=2
	s_or_b32 exec_lo, exec_lo, s45
	s_andn2_b32 s44, s44, exec_lo
	s_and_b32 s45, s46, exec_lo
	s_or_b32 s44, s44, s45
	s_or_b32 exec_lo, exec_lo, s1
	s_and_b32 exec_lo, exec_lo, s44
	s_cbranch_execz .LBB29_7
.LBB29_50:                              ;   in Loop: Header=BB29_8 Depth=2
	global_store_dword v[11:12], v5, off offset:4
	s_branch .LBB29_7
.LBB29_51:
	s_endpgm
	.section	.rodata,"a",@progbits
	.p2align	6, 0x0
	.amdhsa_kernel _ZN9rocsparseL17kernel_correctionILi1024ELi2E21rocsparse_complex_numIfEiiEEvT3_T2_PKS4_S6_PKS3_PKT1_21rocsparse_index_base_S6_S6_S8_SB_PS9_SC_S6_S6_S8_SB_SD_SC_SB_SD_
		.amdhsa_group_segment_fixed_size 0
		.amdhsa_private_segment_fixed_size 0
		.amdhsa_kernarg_size 160
		.amdhsa_user_sgpr_count 6
		.amdhsa_user_sgpr_private_segment_buffer 1
		.amdhsa_user_sgpr_dispatch_ptr 0
		.amdhsa_user_sgpr_queue_ptr 0
		.amdhsa_user_sgpr_kernarg_segment_ptr 1
		.amdhsa_user_sgpr_dispatch_id 0
		.amdhsa_user_sgpr_flat_scratch_init 0
		.amdhsa_user_sgpr_private_segment_size 0
		.amdhsa_wavefront_size32 1
		.amdhsa_uses_dynamic_stack 0
		.amdhsa_system_sgpr_private_segment_wavefront_offset 0
		.amdhsa_system_sgpr_workgroup_id_x 1
		.amdhsa_system_sgpr_workgroup_id_y 0
		.amdhsa_system_sgpr_workgroup_id_z 0
		.amdhsa_system_sgpr_workgroup_info 0
		.amdhsa_system_vgpr_workitem_id 0
		.amdhsa_next_free_vgpr 31
		.amdhsa_next_free_sgpr 53
		.amdhsa_reserve_vcc 1
		.amdhsa_reserve_flat_scratch 0
		.amdhsa_float_round_mode_32 0
		.amdhsa_float_round_mode_16_64 0
		.amdhsa_float_denorm_mode_32 3
		.amdhsa_float_denorm_mode_16_64 3
		.amdhsa_dx10_clamp 1
		.amdhsa_ieee_mode 1
		.amdhsa_fp16_overflow 0
		.amdhsa_workgroup_processor_mode 1
		.amdhsa_memory_ordered 1
		.amdhsa_forward_progress 1
		.amdhsa_shared_vgpr_count 0
		.amdhsa_exception_fp_ieee_invalid_op 0
		.amdhsa_exception_fp_denorm_src 0
		.amdhsa_exception_fp_ieee_div_zero 0
		.amdhsa_exception_fp_ieee_overflow 0
		.amdhsa_exception_fp_ieee_underflow 0
		.amdhsa_exception_fp_ieee_inexact 0
		.amdhsa_exception_int_div_zero 0
	.end_amdhsa_kernel
	.section	.text._ZN9rocsparseL17kernel_correctionILi1024ELi2E21rocsparse_complex_numIfEiiEEvT3_T2_PKS4_S6_PKS3_PKT1_21rocsparse_index_base_S6_S6_S8_SB_PS9_SC_S6_S6_S8_SB_SD_SC_SB_SD_,"axG",@progbits,_ZN9rocsparseL17kernel_correctionILi1024ELi2E21rocsparse_complex_numIfEiiEEvT3_T2_PKS4_S6_PKS3_PKT1_21rocsparse_index_base_S6_S6_S8_SB_PS9_SC_S6_S6_S8_SB_SD_SC_SB_SD_,comdat
.Lfunc_end29:
	.size	_ZN9rocsparseL17kernel_correctionILi1024ELi2E21rocsparse_complex_numIfEiiEEvT3_T2_PKS4_S6_PKS3_PKT1_21rocsparse_index_base_S6_S6_S8_SB_PS9_SC_S6_S6_S8_SB_SD_SC_SB_SD_, .Lfunc_end29-_ZN9rocsparseL17kernel_correctionILi1024ELi2E21rocsparse_complex_numIfEiiEEvT3_T2_PKS4_S6_PKS3_PKT1_21rocsparse_index_base_S6_S6_S8_SB_PS9_SC_S6_S6_S8_SB_SD_SC_SB_SD_
                                        ; -- End function
	.set _ZN9rocsparseL17kernel_correctionILi1024ELi2E21rocsparse_complex_numIfEiiEEvT3_T2_PKS4_S6_PKS3_PKT1_21rocsparse_index_base_S6_S6_S8_SB_PS9_SC_S6_S6_S8_SB_SD_SC_SB_SD_.num_vgpr, 31
	.set _ZN9rocsparseL17kernel_correctionILi1024ELi2E21rocsparse_complex_numIfEiiEEvT3_T2_PKS4_S6_PKS3_PKT1_21rocsparse_index_base_S6_S6_S8_SB_PS9_SC_S6_S6_S8_SB_SD_SC_SB_SD_.num_agpr, 0
	.set _ZN9rocsparseL17kernel_correctionILi1024ELi2E21rocsparse_complex_numIfEiiEEvT3_T2_PKS4_S6_PKS3_PKT1_21rocsparse_index_base_S6_S6_S8_SB_PS9_SC_S6_S6_S8_SB_SD_SC_SB_SD_.numbered_sgpr, 53
	.set _ZN9rocsparseL17kernel_correctionILi1024ELi2E21rocsparse_complex_numIfEiiEEvT3_T2_PKS4_S6_PKS3_PKT1_21rocsparse_index_base_S6_S6_S8_SB_PS9_SC_S6_S6_S8_SB_SD_SC_SB_SD_.num_named_barrier, 0
	.set _ZN9rocsparseL17kernel_correctionILi1024ELi2E21rocsparse_complex_numIfEiiEEvT3_T2_PKS4_S6_PKS3_PKT1_21rocsparse_index_base_S6_S6_S8_SB_PS9_SC_S6_S6_S8_SB_SD_SC_SB_SD_.private_seg_size, 0
	.set _ZN9rocsparseL17kernel_correctionILi1024ELi2E21rocsparse_complex_numIfEiiEEvT3_T2_PKS4_S6_PKS3_PKT1_21rocsparse_index_base_S6_S6_S8_SB_PS9_SC_S6_S6_S8_SB_SD_SC_SB_SD_.uses_vcc, 1
	.set _ZN9rocsparseL17kernel_correctionILi1024ELi2E21rocsparse_complex_numIfEiiEEvT3_T2_PKS4_S6_PKS3_PKT1_21rocsparse_index_base_S6_S6_S8_SB_PS9_SC_S6_S6_S8_SB_SD_SC_SB_SD_.uses_flat_scratch, 0
	.set _ZN9rocsparseL17kernel_correctionILi1024ELi2E21rocsparse_complex_numIfEiiEEvT3_T2_PKS4_S6_PKS3_PKT1_21rocsparse_index_base_S6_S6_S8_SB_PS9_SC_S6_S6_S8_SB_SD_SC_SB_SD_.has_dyn_sized_stack, 0
	.set _ZN9rocsparseL17kernel_correctionILi1024ELi2E21rocsparse_complex_numIfEiiEEvT3_T2_PKS4_S6_PKS3_PKT1_21rocsparse_index_base_S6_S6_S8_SB_PS9_SC_S6_S6_S8_SB_SD_SC_SB_SD_.has_recursion, 0
	.set _ZN9rocsparseL17kernel_correctionILi1024ELi2E21rocsparse_complex_numIfEiiEEvT3_T2_PKS4_S6_PKS3_PKT1_21rocsparse_index_base_S6_S6_S8_SB_PS9_SC_S6_S6_S8_SB_SD_SC_SB_SD_.has_indirect_call, 0
	.section	.AMDGPU.csdata,"",@progbits
; Kernel info:
; codeLenInByte = 2428
; TotalNumSgprs: 55
; NumVgprs: 31
; ScratchSize: 0
; MemoryBound: 0
; FloatMode: 240
; IeeeMode: 1
; LDSByteSize: 0 bytes/workgroup (compile time only)
; SGPRBlocks: 0
; VGPRBlocks: 3
; NumSGPRsForWavesPerEU: 55
; NumVGPRsForWavesPerEU: 31
; Occupancy: 16
; WaveLimiterHint : 1
; COMPUTE_PGM_RSRC2:SCRATCH_EN: 0
; COMPUTE_PGM_RSRC2:USER_SGPR: 6
; COMPUTE_PGM_RSRC2:TRAP_HANDLER: 0
; COMPUTE_PGM_RSRC2:TGID_X_EN: 1
; COMPUTE_PGM_RSRC2:TGID_Y_EN: 0
; COMPUTE_PGM_RSRC2:TGID_Z_EN: 0
; COMPUTE_PGM_RSRC2:TIDIG_COMP_CNT: 0
	.section	.text._ZN9rocsparseL17kernel_correctionILi1024ELi4E21rocsparse_complex_numIfEiiEEvT3_T2_PKS4_S6_PKS3_PKT1_21rocsparse_index_base_S6_S6_S8_SB_PS9_SC_S6_S6_S8_SB_SD_SC_SB_SD_,"axG",@progbits,_ZN9rocsparseL17kernel_correctionILi1024ELi4E21rocsparse_complex_numIfEiiEEvT3_T2_PKS4_S6_PKS3_PKT1_21rocsparse_index_base_S6_S6_S8_SB_PS9_SC_S6_S6_S8_SB_SD_SC_SB_SD_,comdat
	.globl	_ZN9rocsparseL17kernel_correctionILi1024ELi4E21rocsparse_complex_numIfEiiEEvT3_T2_PKS4_S6_PKS3_PKT1_21rocsparse_index_base_S6_S6_S8_SB_PS9_SC_S6_S6_S8_SB_SD_SC_SB_SD_ ; -- Begin function _ZN9rocsparseL17kernel_correctionILi1024ELi4E21rocsparse_complex_numIfEiiEEvT3_T2_PKS4_S6_PKS3_PKT1_21rocsparse_index_base_S6_S6_S8_SB_PS9_SC_S6_S6_S8_SB_SD_SC_SB_SD_
	.p2align	8
	.type	_ZN9rocsparseL17kernel_correctionILi1024ELi4E21rocsparse_complex_numIfEiiEEvT3_T2_PKS4_S6_PKS3_PKT1_21rocsparse_index_base_S6_S6_S8_SB_PS9_SC_S6_S6_S8_SB_SD_SC_SB_SD_,@function
_ZN9rocsparseL17kernel_correctionILi1024ELi4E21rocsparse_complex_numIfEiiEEvT3_T2_PKS4_S6_PKS3_PKT1_21rocsparse_index_base_S6_S6_S8_SB_PS9_SC_S6_S6_S8_SB_SD_SC_SB_SD_: ; @_ZN9rocsparseL17kernel_correctionILi1024ELi4E21rocsparse_complex_numIfEiiEEvT3_T2_PKS4_S6_PKS3_PKT1_21rocsparse_index_base_S6_S6_S8_SB_PS9_SC_S6_S6_S8_SB_SD_SC_SB_SD_
; %bb.0:
	s_load_dword s3, s[4:5], 0x0
	v_lshrrev_b32_e32 v1, 2, v0
	s_lshl_b32 s33, s6, 10
	s_mov_b32 s0, exec_lo
	v_or_b32_e32 v1, s33, v1
	s_waitcnt lgkmcnt(0)
	v_cmpx_gt_i32_e64 s3, v1
	s_cbranch_execz .LBB30_51
; %bb.1:
	s_addk_i32 s33, 0x400
	v_cmp_gt_u32_e32 vcc_lo, s33, v1
	s_and_b32 exec_lo, exec_lo, vcc_lo
	s_cbranch_execz .LBB30_51
; %bb.2:
	s_clause 0x8
	s_load_dwordx4 s[36:39], s[4:5], 0x90
	s_load_dwordx8 s[8:15], s[4:5], 0x60
	s_load_dword s40, s[4:5], 0x28
	s_load_dwordx8 s[16:23], s[4:5], 0x30
	s_load_dwordx8 s[24:31], s[4:5], 0x8
	s_load_dwordx2 s[6:7], s[4:5], 0x50
	s_load_dword s41, s[4:5], 0x58
	s_load_dwordx2 s[34:35], s[4:5], 0x80
	s_load_dword s4, s[4:5], 0x88
	v_and_b32_e32 v0, 3, v0
	v_mov_b32_e32 v3, 0
	s_mov_b32 s5, 0
	s_waitcnt lgkmcnt(0)
	v_subrev_nc_u32_e32 v0, s40, v0
	s_branch .LBB30_4
.LBB30_3:                               ;   in Loop: Header=BB30_4 Depth=1
	s_or_b32 exec_lo, exec_lo, s42
	v_add_nc_u32_e32 v1, 0x100, v1
	v_cmp_le_u32_e32 vcc_lo, s33, v1
	s_or_b32 s5, vcc_lo, s5
	s_andn2_b32 exec_lo, exec_lo, s5
	s_cbranch_execz .LBB30_51
.LBB30_4:                               ; =>This Loop Header: Depth=1
                                        ;     Child Loop BB30_8 Depth 2
                                        ;       Child Loop BB30_12 Depth 3
                                        ;       Child Loop BB30_34 Depth 3
	;; [unrolled: 1-line block ×3, first 2 shown]
	s_mov_b32 s42, exec_lo
	v_cmpx_gt_i32_e64 s3, v1
	s_cbranch_execz .LBB30_3
; %bb.5:                                ;   in Loop: Header=BB30_4 Depth=1
	v_ashrrev_i32_e32 v2, 31, v1
	v_lshlrev_b64 v[5:6], 2, v[1:2]
	v_add_co_u32 v7, vcc_lo, s24, v5
	v_add_co_ci_u32_e64 v8, null, s25, v6, vcc_lo
	v_add_co_u32 v9, vcc_lo, s26, v5
	v_add_co_ci_u32_e64 v10, null, s27, v6, vcc_lo
	global_load_dword v2, v[7:8], off
	global_load_dword v7, v[9:10], off
	s_waitcnt vmcnt(1)
	v_add_nc_u32_e32 v4, v0, v2
	s_waitcnt vmcnt(0)
	v_subrev_nc_u32_e32 v13, s40, v7
	v_cmp_lt_i32_e32 vcc_lo, v4, v13
	s_and_b32 exec_lo, exec_lo, vcc_lo
	s_cbranch_execz .LBB30_3
; %bb.6:                                ;   in Loop: Header=BB30_4 Depth=1
	v_add_co_u32 v7, vcc_lo, s16, v5
	v_add_co_ci_u32_e64 v8, null, s17, v6, vcc_lo
	v_add_co_u32 v5, vcc_lo, s18, v5
	v_add_co_ci_u32_e64 v6, null, s19, v6, vcc_lo
	global_load_dword v2, v[7:8], off
	s_mov_b32 s43, 0
	global_load_dword v5, v[5:6], off
	s_waitcnt vmcnt(1)
	v_subrev_nc_u32_e32 v6, s41, v2
	s_waitcnt vmcnt(0)
	v_sub_nc_u32_e32 v14, v5, v2
	v_ashrrev_i32_e32 v7, 31, v6
	v_cmp_lt_i32_e64 s0, 0, v14
	v_lshlrev_b64 v[8:9], 2, v[6:7]
	v_lshlrev_b64 v[10:11], 3, v[6:7]
	v_add_co_u32 v15, vcc_lo, s20, v8
	v_add_co_ci_u32_e64 v16, null, s21, v9, vcc_lo
	v_add_co_u32 v17, vcc_lo, s22, v10
	v_add_co_ci_u32_e64 v18, null, s23, v11, vcc_lo
	s_branch .LBB30_8
.LBB30_7:                               ;   in Loop: Header=BB30_8 Depth=2
	s_or_b32 exec_lo, exec_lo, s2
	v_add_nc_u32_e32 v4, 4, v4
	v_cmp_ge_i32_e32 vcc_lo, v4, v13
	s_or_b32 s43, vcc_lo, s43
	s_andn2_b32 exec_lo, exec_lo, s43
	s_cbranch_execz .LBB30_3
.LBB30_8:                               ;   Parent Loop BB30_4 Depth=1
                                        ; =>  This Loop Header: Depth=2
                                        ;       Child Loop BB30_12 Depth 3
                                        ;       Child Loop BB30_34 Depth 3
	;; [unrolled: 1-line block ×3, first 2 shown]
	v_ashrrev_i32_e32 v5, 31, v4
	v_mov_b32_e32 v21, 0
	v_lshlrev_b64 v[7:8], 2, v[4:5]
	v_add_co_u32 v7, vcc_lo, s28, v7
	v_add_co_ci_u32_e64 v8, null, s29, v8, vcc_lo
	global_load_dword v2, v[7:8], off
	s_waitcnt vmcnt(0)
	v_subrev_nc_u32_e32 v7, s40, v2
	v_mov_b32_e32 v2, 0
	v_ashrrev_i32_e32 v8, 31, v7
	v_lshlrev_b64 v[9:10], 2, v[7:8]
	v_add_co_u32 v11, vcc_lo, s8, v9
	v_add_co_ci_u32_e64 v12, null, s9, v10, vcc_lo
	v_add_co_u32 v9, vcc_lo, s10, v9
	v_add_co_ci_u32_e64 v10, null, s11, v10, vcc_lo
	global_load_dword v11, v[11:12], off
	global_load_dword v10, v[9:10], off
	v_mov_b32_e32 v12, 0
	s_waitcnt vmcnt(1)
	v_subrev_nc_u32_e32 v9, s4, v11
	s_waitcnt vmcnt(0)
	v_sub_nc_u32_e32 v19, v10, v11
	v_mov_b32_e32 v10, v2
	s_and_saveexec_b32 s2, s0
	s_cbranch_execz .LBB30_16
; %bb.9:                                ;   in Loop: Header=BB30_8 Depth=2
	v_ashrrev_i32_e32 v10, 31, v9
	v_mov_b32_e32 v12, 0
	v_mov_b32_e32 v2, 0
	s_mov_b32 s44, 0
                                        ; implicit-def: $sgpr45
	v_lshlrev_b64 v[20:21], 2, v[9:10]
	v_lshlrev_b64 v[10:11], 3, v[9:10]
	v_add_co_u32 v20, vcc_lo, s12, v20
	v_add_co_ci_u32_e64 v22, null, s13, v21, vcc_lo
	v_add_co_u32 v23, vcc_lo, s14, v10
	v_add_co_ci_u32_e64 v24, null, s15, v11, vcc_lo
	v_mov_b32_e32 v10, 0
	v_mov_b32_e32 v21, 0
	s_branch .LBB30_12
.LBB30_10:                              ;   in Loop: Header=BB30_12 Depth=3
	s_or_b32 exec_lo, exec_lo, s1
	v_cmp_le_i32_e32 vcc_lo, v25, v26
	v_cmp_ge_i32_e64 s1, v25, v26
	v_add_co_ci_u32_e64 v2, null, 0, v2, vcc_lo
	v_add_co_ci_u32_e64 v10, null, 0, v10, s1
	s_andn2_b32 s1, s45, exec_lo
	v_cmp_ge_i32_e32 vcc_lo, v2, v14
	s_and_b32 s45, vcc_lo, exec_lo
	s_or_b32 s45, s1, s45
.LBB30_11:                              ;   in Loop: Header=BB30_12 Depth=3
	s_or_b32 exec_lo, exec_lo, s46
	s_and_b32 s1, exec_lo, s45
	s_or_b32 s44, s1, s44
	s_andn2_b32 exec_lo, exec_lo, s44
	s_cbranch_execz .LBB30_15
.LBB30_12:                              ;   Parent Loop BB30_4 Depth=1
                                        ;     Parent Loop BB30_8 Depth=2
                                        ; =>    This Inner Loop Header: Depth=3
	s_or_b32 s45, s45, exec_lo
	s_mov_b32 s46, exec_lo
	v_cmpx_lt_i32_e64 v10, v19
	s_cbranch_execz .LBB30_11
; %bb.13:                               ;   in Loop: Header=BB30_12 Depth=3
	v_mov_b32_e32 v11, v3
	v_lshlrev_b64 v[25:26], 2, v[2:3]
	s_mov_b32 s1, exec_lo
	v_lshlrev_b64 v[27:28], 2, v[10:11]
	v_add_co_u32 v25, vcc_lo, v15, v25
	v_add_co_ci_u32_e64 v26, null, v16, v26, vcc_lo
	v_add_co_u32 v27, vcc_lo, v20, v27
	v_add_co_ci_u32_e64 v28, null, v22, v28, vcc_lo
	global_load_dword v25, v[25:26], off
	global_load_dword v26, v[27:28], off
	s_waitcnt vmcnt(1)
	v_subrev_nc_u32_e32 v25, s41, v25
	s_waitcnt vmcnt(0)
	v_subrev_nc_u32_e32 v26, s4, v26
	v_cmpx_eq_u32_e64 v25, v26
	s_cbranch_execz .LBB30_10
; %bb.14:                               ;   in Loop: Header=BB30_12 Depth=3
	v_lshlrev_b64 v[27:28], 3, v[2:3]
	v_lshlrev_b64 v[29:30], 3, v[10:11]
	v_add_co_u32 v27, vcc_lo, v17, v27
	v_add_co_ci_u32_e64 v28, null, v18, v28, vcc_lo
	v_add_co_u32 v29, vcc_lo, v23, v29
	v_add_co_ci_u32_e64 v30, null, v24, v30, vcc_lo
	global_load_dwordx2 v[27:28], v[27:28], off
	global_load_dwordx2 v[29:30], v[29:30], off
	s_waitcnt vmcnt(0)
	v_fmac_f32_e32 v12, v27, v29
	v_fmac_f32_e32 v21, v28, v29
	v_fma_f32 v12, -v28, v30, v12
	v_fmac_f32_e32 v21, v27, v30
	s_branch .LBB30_10
.LBB30_15:                              ;   in Loop: Header=BB30_8 Depth=2
	s_or_b32 exec_lo, exec_lo, s44
.LBB30_16:                              ;   in Loop: Header=BB30_8 Depth=2
	s_or_b32 exec_lo, exec_lo, s2
	v_lshlrev_b64 v[22:23], 3, v[4:5]
	v_cmp_le_i32_e64 s1, v1, v7
	s_mov_b32 s2, exec_lo
	v_add_co_u32 v22, vcc_lo, s30, v22
	v_add_co_ci_u32_e64 v23, null, s31, v23, vcc_lo
	global_load_dwordx2 v[22:23], v[22:23], off
	s_waitcnt vmcnt(0)
	v_sub_f32_e32 v20, v22, v12
	v_sub_f32_e32 v5, v23, v21
	v_cmpx_gt_i32_e64 v1, v7
	s_cbranch_execz .LBB30_18
; %bb.17:                               ;   in Loop: Header=BB30_8 Depth=2
	v_lshlrev_b64 v[11:12], 3, v[7:8]
	v_add_co_u32 v11, vcc_lo, s36, v11
	v_add_co_ci_u32_e64 v12, null, s37, v12, vcc_lo
	global_load_dwordx2 v[11:12], v[11:12], off
	s_waitcnt vmcnt(0)
	v_mul_f32_e32 v21, v12, v12
	v_fmac_f32_e32 v21, v11, v11
	v_div_scale_f32 v22, null, v21, v21, 1.0
	v_div_scale_f32 v25, vcc_lo, 1.0, v21, 1.0
	v_rcp_f32_e32 v23, v22
	v_fma_f32 v24, -v22, v23, 1.0
	v_fmac_f32_e32 v23, v24, v23
	v_mul_f32_e32 v24, v25, v23
	v_fma_f32 v26, -v22, v24, v25
	v_fmac_f32_e32 v24, v26, v23
	v_fma_f32 v22, -v22, v24, v25
	v_div_fmas_f32 v22, v22, v23, v24
	v_mul_f32_e32 v23, v5, v12
	v_mul_f32_e64 v12, v12, -v20
	v_div_fixup_f32 v21, v22, v21, 1.0
	v_fmac_f32_e32 v23, v20, v11
	v_fmac_f32_e32 v12, v5, v11
	v_mul_f32_e32 v20, v23, v21
	v_mul_f32_e32 v5, v12, v21
.LBB30_18:                              ;   in Loop: Header=BB30_8 Depth=2
	s_or_b32 exec_lo, exec_lo, s2
	v_cmp_gt_f32_e32 vcc_lo, 0, v20
                                        ; implicit-def: $vgpr21
	s_mov_b32 s2, exec_lo
	v_cndmask_b32_e64 v11, v20, -v20, vcc_lo
	v_cmp_gt_f32_e32 vcc_lo, 0, v5
	v_cndmask_b32_e64 v12, v5, -v5, vcc_lo
	v_cmpx_ngt_f32_e32 v11, v12
	s_xor_b32 s44, exec_lo, s2
	s_cbranch_execnz .LBB30_21
; %bb.19:                               ;   in Loop: Header=BB30_8 Depth=2
	s_andn2_saveexec_b32 s44, s44
	s_cbranch_execnz .LBB30_24
.LBB30_20:                              ;   in Loop: Header=BB30_8 Depth=2
	s_or_b32 exec_lo, exec_lo, s44
	v_cmp_class_f32_e64 s44, v21, 0x1f8
	s_and_saveexec_b32 s2, s44
	s_cbranch_execz .LBB30_7
	s_branch .LBB30_25
.LBB30_21:                              ;   in Loop: Header=BB30_8 Depth=2
	v_mov_b32_e32 v21, 0
	s_mov_b32 s45, exec_lo
	v_cmpx_neq_f32_e32 0, v5
	s_cbranch_execz .LBB30_23
; %bb.22:                               ;   in Loop: Header=BB30_8 Depth=2
	v_div_scale_f32 v21, null, v12, v12, v11
	v_div_scale_f32 v24, vcc_lo, v11, v12, v11
	v_rcp_f32_e32 v22, v21
	v_fma_f32 v23, -v21, v22, 1.0
	v_fmac_f32_e32 v22, v23, v22
	v_mul_f32_e32 v23, v24, v22
	v_fma_f32 v25, -v21, v23, v24
	v_fmac_f32_e32 v23, v25, v22
	v_fma_f32 v21, -v21, v23, v24
	v_div_fmas_f32 v21, v21, v22, v23
	v_div_fixup_f32 v11, v21, v12, v11
	v_fma_f32 v11, v11, v11, 1.0
	v_mul_f32_e32 v21, 0x4f800000, v11
	v_cmp_gt_f32_e32 vcc_lo, 0xf800000, v11
	v_cndmask_b32_e32 v11, v11, v21, vcc_lo
	v_sqrt_f32_e32 v21, v11
	v_add_nc_u32_e32 v22, -1, v21
	v_add_nc_u32_e32 v23, 1, v21
	v_fma_f32 v24, -v22, v21, v11
	v_fma_f32 v25, -v23, v21, v11
	v_cmp_ge_f32_e64 s2, 0, v24
	v_cndmask_b32_e64 v21, v21, v22, s2
	v_cmp_lt_f32_e64 s2, 0, v25
	v_cndmask_b32_e64 v21, v21, v23, s2
	v_mul_f32_e32 v22, 0x37800000, v21
	v_cndmask_b32_e32 v21, v21, v22, vcc_lo
	v_cmp_class_f32_e64 vcc_lo, v11, 0x260
	v_cndmask_b32_e32 v11, v21, v11, vcc_lo
	v_mul_f32_e32 v21, v12, v11
.LBB30_23:                              ;   in Loop: Header=BB30_8 Depth=2
	s_or_b32 exec_lo, exec_lo, s45
                                        ; implicit-def: $vgpr11
                                        ; implicit-def: $vgpr12
	s_andn2_saveexec_b32 s44, s44
	s_cbranch_execz .LBB30_20
.LBB30_24:                              ;   in Loop: Header=BB30_8 Depth=2
	v_div_scale_f32 v21, null, v11, v11, v12
	v_div_scale_f32 v24, vcc_lo, v12, v11, v12
	v_rcp_f32_e32 v22, v21
	v_fma_f32 v23, -v21, v22, 1.0
	v_fmac_f32_e32 v22, v23, v22
	v_mul_f32_e32 v23, v24, v22
	v_fma_f32 v25, -v21, v23, v24
	v_fmac_f32_e32 v23, v25, v22
	v_fma_f32 v21, -v21, v23, v24
	v_div_fmas_f32 v21, v21, v22, v23
	v_div_fixup_f32 v12, v21, v11, v12
	v_fma_f32 v12, v12, v12, 1.0
	v_mul_f32_e32 v21, 0x4f800000, v12
	v_cmp_gt_f32_e32 vcc_lo, 0xf800000, v12
	v_cndmask_b32_e32 v12, v12, v21, vcc_lo
	v_sqrt_f32_e32 v21, v12
	v_add_nc_u32_e32 v22, -1, v21
	v_add_nc_u32_e32 v23, 1, v21
	v_fma_f32 v24, -v22, v21, v12
	v_fma_f32 v25, -v23, v21, v12
	v_cmp_ge_f32_e64 s2, 0, v24
	v_cndmask_b32_e64 v21, v21, v22, s2
	v_cmp_lt_f32_e64 s2, 0, v25
	v_cndmask_b32_e64 v21, v21, v23, s2
	v_mul_f32_e32 v22, 0x37800000, v21
	v_cndmask_b32_e32 v21, v21, v22, vcc_lo
	v_cmp_class_f32_e64 vcc_lo, v12, 0x260
	v_cndmask_b32_e32 v12, v21, v12, vcc_lo
	v_mul_f32_e32 v21, v11, v12
	s_or_b32 exec_lo, exec_lo, s44
	v_cmp_class_f32_e64 s44, v21, 0x1f8
	s_and_saveexec_b32 s2, s44
	s_cbranch_execz .LBB30_7
.LBB30_25:                              ;   in Loop: Header=BB30_8 Depth=2
	s_mov_b32 s44, 0
                                        ; implicit-def: $vgpr11_vgpr12
	s_and_saveexec_b32 s45, s1
	s_xor_b32 s1, exec_lo, s45
	s_cbranch_execnz .LBB30_28
; %bb.26:                               ;   in Loop: Header=BB30_8 Depth=2
	s_andn2_saveexec_b32 s1, s1
	s_cbranch_execnz .LBB30_41
.LBB30_27:                              ;   in Loop: Header=BB30_8 Depth=2
	s_or_b32 exec_lo, exec_lo, s1
	s_and_b32 exec_lo, exec_lo, s44
	s_cbranch_execz .LBB30_7
	s_branch .LBB30_50
.LBB30_28:                              ;   in Loop: Header=BB30_8 Depth=2
	s_mov_b32 s45, exec_lo
                                        ; implicit-def: $vgpr11_vgpr12
	v_cmpx_ge_i32_e64 v1, v7
	s_xor_b32 s45, exec_lo, s45
	s_cbranch_execz .LBB30_30
; %bb.29:                               ;   in Loop: Header=BB30_8 Depth=2
	v_lshlrev_b64 v[7:8], 3, v[7:8]
	s_mov_b32 s44, exec_lo
                                        ; implicit-def: $vgpr10
                                        ; implicit-def: $vgpr19
                                        ; implicit-def: $vgpr9
	v_add_co_u32 v11, vcc_lo, s38, v7
	v_add_co_ci_u32_e64 v12, null, s39, v8, vcc_lo
	global_store_dword v[11:12], v20, off
                                        ; implicit-def: $vgpr20
.LBB30_30:                              ;   in Loop: Header=BB30_8 Depth=2
	s_andn2_saveexec_b32 s45, s45
	s_cbranch_execz .LBB30_40
; %bb.31:                               ;   in Loop: Header=BB30_8 Depth=2
	s_mov_b32 s47, s44
	s_mov_b32 s46, exec_lo
                                        ; implicit-def: $vgpr11_vgpr12
	v_cmpx_lt_i32_e64 v10, v19
	s_cbranch_execz .LBB30_39
; %bb.32:                               ;   in Loop: Header=BB30_8 Depth=2
	s_mov_b32 s48, 0
                                        ; implicit-def: $sgpr47
                                        ; implicit-def: $sgpr50
                                        ; implicit-def: $sgpr49
	s_inst_prefetch 0x1
	s_branch .LBB30_34
	.p2align	6
.LBB30_33:                              ;   in Loop: Header=BB30_34 Depth=3
	s_or_b32 exec_lo, exec_lo, s51
	s_and_b32 s51, exec_lo, s50
	s_or_b32 s48, s51, s48
	s_andn2_b32 s47, s47, exec_lo
	s_and_b32 s51, s49, exec_lo
	s_or_b32 s47, s47, s51
	s_andn2_b32 exec_lo, exec_lo, s48
	s_cbranch_execz .LBB30_36
.LBB30_34:                              ;   Parent Loop BB30_4 Depth=1
                                        ;     Parent Loop BB30_8 Depth=2
                                        ; =>    This Inner Loop Header: Depth=3
	v_add_nc_u32_e32 v7, v9, v10
	s_or_b32 s49, s49, exec_lo
	s_or_b32 s50, s50, exec_lo
	s_mov_b32 s51, exec_lo
	v_ashrrev_i32_e32 v8, 31, v7
	v_lshlrev_b64 v[11:12], 2, v[7:8]
	v_add_co_u32 v11, vcc_lo, s12, v11
	v_add_co_ci_u32_e64 v12, null, s13, v12, vcc_lo
	global_load_dword v2, v[11:12], off
	s_waitcnt vmcnt(0)
	v_subrev_nc_u32_e32 v2, s4, v2
	v_cmpx_ne_u32_e64 v2, v1
	s_cbranch_execz .LBB30_33
; %bb.35:                               ;   in Loop: Header=BB30_34 Depth=3
	v_add_nc_u32_e32 v10, 1, v10
	s_andn2_b32 s50, s50, exec_lo
	s_andn2_b32 s49, s49, exec_lo
	v_cmp_ge_i32_e32 vcc_lo, v10, v19
	s_and_b32 s52, vcc_lo, exec_lo
	s_or_b32 s50, s50, s52
	s_branch .LBB30_33
.LBB30_36:                              ;   in Loop: Header=BB30_8 Depth=2
	s_inst_prefetch 0x2
	s_or_b32 exec_lo, exec_lo, s48
	s_mov_b32 s48, s44
                                        ; implicit-def: $vgpr11_vgpr12
	s_and_saveexec_b32 s49, s47
	s_xor_b32 s47, exec_lo, s49
	s_cbranch_execz .LBB30_38
; %bb.37:                               ;   in Loop: Header=BB30_8 Depth=2
	v_lshlrev_b64 v[7:8], 3, v[7:8]
	s_or_b32 s48, s44, exec_lo
	v_add_co_u32 v11, vcc_lo, s34, v7
	v_add_co_ci_u32_e64 v12, null, s35, v8, vcc_lo
	global_store_dword v[11:12], v20, off
.LBB30_38:                              ;   in Loop: Header=BB30_8 Depth=2
	s_or_b32 exec_lo, exec_lo, s47
	s_andn2_b32 s47, s44, exec_lo
	s_and_b32 s48, s48, exec_lo
	s_or_b32 s47, s47, s48
.LBB30_39:                              ;   in Loop: Header=BB30_8 Depth=2
	s_or_b32 exec_lo, exec_lo, s46
	s_andn2_b32 s44, s44, exec_lo
	s_and_b32 s46, s47, exec_lo
	s_or_b32 s44, s44, s46
.LBB30_40:                              ;   in Loop: Header=BB30_8 Depth=2
	s_or_b32 exec_lo, exec_lo, s45
	s_and_b32 s44, s44, exec_lo
                                        ; implicit-def: $vgpr20
                                        ; implicit-def: $vgpr7_vgpr8
	s_andn2_saveexec_b32 s1, s1
	s_cbranch_execz .LBB30_27
.LBB30_41:                              ;   in Loop: Header=BB30_8 Depth=2
	s_mov_b32 s46, s44
	s_mov_b32 s45, exec_lo
                                        ; implicit-def: $vgpr11_vgpr12
	v_cmpx_lt_i32_e64 v2, v14
	s_cbranch_execz .LBB30_49
; %bb.42:                               ;   in Loop: Header=BB30_8 Depth=2
	s_mov_b32 s47, 0
                                        ; implicit-def: $sgpr46
                                        ; implicit-def: $sgpr49
                                        ; implicit-def: $sgpr48
	s_inst_prefetch 0x1
	s_branch .LBB30_44
	.p2align	6
.LBB30_43:                              ;   in Loop: Header=BB30_44 Depth=3
	s_or_b32 exec_lo, exec_lo, s50
	s_and_b32 s50, exec_lo, s49
	s_or_b32 s47, s50, s47
	s_andn2_b32 s46, s46, exec_lo
	s_and_b32 s50, s48, exec_lo
	s_or_b32 s46, s46, s50
	s_andn2_b32 exec_lo, exec_lo, s47
	s_cbranch_execz .LBB30_46
.LBB30_44:                              ;   Parent Loop BB30_4 Depth=1
                                        ;     Parent Loop BB30_8 Depth=2
                                        ; =>    This Inner Loop Header: Depth=3
	v_add_nc_u32_e32 v8, v6, v2
	s_or_b32 s48, s48, exec_lo
	s_or_b32 s49, s49, exec_lo
	s_mov_b32 s50, exec_lo
	v_ashrrev_i32_e32 v9, 31, v8
	v_lshlrev_b64 v[10:11], 2, v[8:9]
	v_add_co_u32 v10, vcc_lo, s20, v10
	v_add_co_ci_u32_e64 v11, null, s21, v11, vcc_lo
	global_load_dword v10, v[10:11], off
	s_waitcnt vmcnt(0)
	v_subrev_nc_u32_e32 v10, s41, v10
	v_cmpx_ne_u32_e64 v10, v7
	s_cbranch_execz .LBB30_43
; %bb.45:                               ;   in Loop: Header=BB30_44 Depth=3
	v_add_nc_u32_e32 v2, 1, v2
	s_andn2_b32 s49, s49, exec_lo
	s_andn2_b32 s48, s48, exec_lo
	v_cmp_ge_i32_e32 vcc_lo, v2, v14
	s_and_b32 s51, vcc_lo, exec_lo
	s_or_b32 s49, s49, s51
	s_branch .LBB30_43
.LBB30_46:                              ;   in Loop: Header=BB30_8 Depth=2
	s_inst_prefetch 0x2
	s_or_b32 exec_lo, exec_lo, s47
	s_mov_b32 s47, s44
                                        ; implicit-def: $vgpr11_vgpr12
	s_and_saveexec_b32 s48, s46
	s_xor_b32 s46, exec_lo, s48
	s_cbranch_execz .LBB30_48
; %bb.47:                               ;   in Loop: Header=BB30_8 Depth=2
	v_lshlrev_b64 v[7:8], 3, v[8:9]
	s_or_b32 s47, s44, exec_lo
	v_add_co_u32 v11, vcc_lo, s6, v7
	v_add_co_ci_u32_e64 v12, null, s7, v8, vcc_lo
	global_store_dword v[11:12], v20, off
.LBB30_48:                              ;   in Loop: Header=BB30_8 Depth=2
	s_or_b32 exec_lo, exec_lo, s46
	s_andn2_b32 s46, s44, exec_lo
	s_and_b32 s47, s47, exec_lo
	s_or_b32 s46, s46, s47
.LBB30_49:                              ;   in Loop: Header=BB30_8 Depth=2
	s_or_b32 exec_lo, exec_lo, s45
	s_andn2_b32 s44, s44, exec_lo
	s_and_b32 s45, s46, exec_lo
	s_or_b32 s44, s44, s45
	s_or_b32 exec_lo, exec_lo, s1
	s_and_b32 exec_lo, exec_lo, s44
	s_cbranch_execz .LBB30_7
.LBB30_50:                              ;   in Loop: Header=BB30_8 Depth=2
	global_store_dword v[11:12], v5, off offset:4
	s_branch .LBB30_7
.LBB30_51:
	s_endpgm
	.section	.rodata,"a",@progbits
	.p2align	6, 0x0
	.amdhsa_kernel _ZN9rocsparseL17kernel_correctionILi1024ELi4E21rocsparse_complex_numIfEiiEEvT3_T2_PKS4_S6_PKS3_PKT1_21rocsparse_index_base_S6_S6_S8_SB_PS9_SC_S6_S6_S8_SB_SD_SC_SB_SD_
		.amdhsa_group_segment_fixed_size 0
		.amdhsa_private_segment_fixed_size 0
		.amdhsa_kernarg_size 160
		.amdhsa_user_sgpr_count 6
		.amdhsa_user_sgpr_private_segment_buffer 1
		.amdhsa_user_sgpr_dispatch_ptr 0
		.amdhsa_user_sgpr_queue_ptr 0
		.amdhsa_user_sgpr_kernarg_segment_ptr 1
		.amdhsa_user_sgpr_dispatch_id 0
		.amdhsa_user_sgpr_flat_scratch_init 0
		.amdhsa_user_sgpr_private_segment_size 0
		.amdhsa_wavefront_size32 1
		.amdhsa_uses_dynamic_stack 0
		.amdhsa_system_sgpr_private_segment_wavefront_offset 0
		.amdhsa_system_sgpr_workgroup_id_x 1
		.amdhsa_system_sgpr_workgroup_id_y 0
		.amdhsa_system_sgpr_workgroup_id_z 0
		.amdhsa_system_sgpr_workgroup_info 0
		.amdhsa_system_vgpr_workitem_id 0
		.amdhsa_next_free_vgpr 31
		.amdhsa_next_free_sgpr 53
		.amdhsa_reserve_vcc 1
		.amdhsa_reserve_flat_scratch 0
		.amdhsa_float_round_mode_32 0
		.amdhsa_float_round_mode_16_64 0
		.amdhsa_float_denorm_mode_32 3
		.amdhsa_float_denorm_mode_16_64 3
		.amdhsa_dx10_clamp 1
		.amdhsa_ieee_mode 1
		.amdhsa_fp16_overflow 0
		.amdhsa_workgroup_processor_mode 1
		.amdhsa_memory_ordered 1
		.amdhsa_forward_progress 1
		.amdhsa_shared_vgpr_count 0
		.amdhsa_exception_fp_ieee_invalid_op 0
		.amdhsa_exception_fp_denorm_src 0
		.amdhsa_exception_fp_ieee_div_zero 0
		.amdhsa_exception_fp_ieee_overflow 0
		.amdhsa_exception_fp_ieee_underflow 0
		.amdhsa_exception_fp_ieee_inexact 0
		.amdhsa_exception_int_div_zero 0
	.end_amdhsa_kernel
	.section	.text._ZN9rocsparseL17kernel_correctionILi1024ELi4E21rocsparse_complex_numIfEiiEEvT3_T2_PKS4_S6_PKS3_PKT1_21rocsparse_index_base_S6_S6_S8_SB_PS9_SC_S6_S6_S8_SB_SD_SC_SB_SD_,"axG",@progbits,_ZN9rocsparseL17kernel_correctionILi1024ELi4E21rocsparse_complex_numIfEiiEEvT3_T2_PKS4_S6_PKS3_PKT1_21rocsparse_index_base_S6_S6_S8_SB_PS9_SC_S6_S6_S8_SB_SD_SC_SB_SD_,comdat
.Lfunc_end30:
	.size	_ZN9rocsparseL17kernel_correctionILi1024ELi4E21rocsparse_complex_numIfEiiEEvT3_T2_PKS4_S6_PKS3_PKT1_21rocsparse_index_base_S6_S6_S8_SB_PS9_SC_S6_S6_S8_SB_SD_SC_SB_SD_, .Lfunc_end30-_ZN9rocsparseL17kernel_correctionILi1024ELi4E21rocsparse_complex_numIfEiiEEvT3_T2_PKS4_S6_PKS3_PKT1_21rocsparse_index_base_S6_S6_S8_SB_PS9_SC_S6_S6_S8_SB_SD_SC_SB_SD_
                                        ; -- End function
	.set _ZN9rocsparseL17kernel_correctionILi1024ELi4E21rocsparse_complex_numIfEiiEEvT3_T2_PKS4_S6_PKS3_PKT1_21rocsparse_index_base_S6_S6_S8_SB_PS9_SC_S6_S6_S8_SB_SD_SC_SB_SD_.num_vgpr, 31
	.set _ZN9rocsparseL17kernel_correctionILi1024ELi4E21rocsparse_complex_numIfEiiEEvT3_T2_PKS4_S6_PKS3_PKT1_21rocsparse_index_base_S6_S6_S8_SB_PS9_SC_S6_S6_S8_SB_SD_SC_SB_SD_.num_agpr, 0
	.set _ZN9rocsparseL17kernel_correctionILi1024ELi4E21rocsparse_complex_numIfEiiEEvT3_T2_PKS4_S6_PKS3_PKT1_21rocsparse_index_base_S6_S6_S8_SB_PS9_SC_S6_S6_S8_SB_SD_SC_SB_SD_.numbered_sgpr, 53
	.set _ZN9rocsparseL17kernel_correctionILi1024ELi4E21rocsparse_complex_numIfEiiEEvT3_T2_PKS4_S6_PKS3_PKT1_21rocsparse_index_base_S6_S6_S8_SB_PS9_SC_S6_S6_S8_SB_SD_SC_SB_SD_.num_named_barrier, 0
	.set _ZN9rocsparseL17kernel_correctionILi1024ELi4E21rocsparse_complex_numIfEiiEEvT3_T2_PKS4_S6_PKS3_PKT1_21rocsparse_index_base_S6_S6_S8_SB_PS9_SC_S6_S6_S8_SB_SD_SC_SB_SD_.private_seg_size, 0
	.set _ZN9rocsparseL17kernel_correctionILi1024ELi4E21rocsparse_complex_numIfEiiEEvT3_T2_PKS4_S6_PKS3_PKT1_21rocsparse_index_base_S6_S6_S8_SB_PS9_SC_S6_S6_S8_SB_SD_SC_SB_SD_.uses_vcc, 1
	.set _ZN9rocsparseL17kernel_correctionILi1024ELi4E21rocsparse_complex_numIfEiiEEvT3_T2_PKS4_S6_PKS3_PKT1_21rocsparse_index_base_S6_S6_S8_SB_PS9_SC_S6_S6_S8_SB_SD_SC_SB_SD_.uses_flat_scratch, 0
	.set _ZN9rocsparseL17kernel_correctionILi1024ELi4E21rocsparse_complex_numIfEiiEEvT3_T2_PKS4_S6_PKS3_PKT1_21rocsparse_index_base_S6_S6_S8_SB_PS9_SC_S6_S6_S8_SB_SD_SC_SB_SD_.has_dyn_sized_stack, 0
	.set _ZN9rocsparseL17kernel_correctionILi1024ELi4E21rocsparse_complex_numIfEiiEEvT3_T2_PKS4_S6_PKS3_PKT1_21rocsparse_index_base_S6_S6_S8_SB_PS9_SC_S6_S6_S8_SB_SD_SC_SB_SD_.has_recursion, 0
	.set _ZN9rocsparseL17kernel_correctionILi1024ELi4E21rocsparse_complex_numIfEiiEEvT3_T2_PKS4_S6_PKS3_PKT1_21rocsparse_index_base_S6_S6_S8_SB_PS9_SC_S6_S6_S8_SB_SD_SC_SB_SD_.has_indirect_call, 0
	.section	.AMDGPU.csdata,"",@progbits
; Kernel info:
; codeLenInByte = 2428
; TotalNumSgprs: 55
; NumVgprs: 31
; ScratchSize: 0
; MemoryBound: 0
; FloatMode: 240
; IeeeMode: 1
; LDSByteSize: 0 bytes/workgroup (compile time only)
; SGPRBlocks: 0
; VGPRBlocks: 3
; NumSGPRsForWavesPerEU: 55
; NumVGPRsForWavesPerEU: 31
; Occupancy: 16
; WaveLimiterHint : 1
; COMPUTE_PGM_RSRC2:SCRATCH_EN: 0
; COMPUTE_PGM_RSRC2:USER_SGPR: 6
; COMPUTE_PGM_RSRC2:TRAP_HANDLER: 0
; COMPUTE_PGM_RSRC2:TGID_X_EN: 1
; COMPUTE_PGM_RSRC2:TGID_Y_EN: 0
; COMPUTE_PGM_RSRC2:TGID_Z_EN: 0
; COMPUTE_PGM_RSRC2:TIDIG_COMP_CNT: 0
	.section	.text._ZN9rocsparseL17kernel_correctionILi1024ELi8E21rocsparse_complex_numIfEiiEEvT3_T2_PKS4_S6_PKS3_PKT1_21rocsparse_index_base_S6_S6_S8_SB_PS9_SC_S6_S6_S8_SB_SD_SC_SB_SD_,"axG",@progbits,_ZN9rocsparseL17kernel_correctionILi1024ELi8E21rocsparse_complex_numIfEiiEEvT3_T2_PKS4_S6_PKS3_PKT1_21rocsparse_index_base_S6_S6_S8_SB_PS9_SC_S6_S6_S8_SB_SD_SC_SB_SD_,comdat
	.globl	_ZN9rocsparseL17kernel_correctionILi1024ELi8E21rocsparse_complex_numIfEiiEEvT3_T2_PKS4_S6_PKS3_PKT1_21rocsparse_index_base_S6_S6_S8_SB_PS9_SC_S6_S6_S8_SB_SD_SC_SB_SD_ ; -- Begin function _ZN9rocsparseL17kernel_correctionILi1024ELi8E21rocsparse_complex_numIfEiiEEvT3_T2_PKS4_S6_PKS3_PKT1_21rocsparse_index_base_S6_S6_S8_SB_PS9_SC_S6_S6_S8_SB_SD_SC_SB_SD_
	.p2align	8
	.type	_ZN9rocsparseL17kernel_correctionILi1024ELi8E21rocsparse_complex_numIfEiiEEvT3_T2_PKS4_S6_PKS3_PKT1_21rocsparse_index_base_S6_S6_S8_SB_PS9_SC_S6_S6_S8_SB_SD_SC_SB_SD_,@function
_ZN9rocsparseL17kernel_correctionILi1024ELi8E21rocsparse_complex_numIfEiiEEvT3_T2_PKS4_S6_PKS3_PKT1_21rocsparse_index_base_S6_S6_S8_SB_PS9_SC_S6_S6_S8_SB_SD_SC_SB_SD_: ; @_ZN9rocsparseL17kernel_correctionILi1024ELi8E21rocsparse_complex_numIfEiiEEvT3_T2_PKS4_S6_PKS3_PKT1_21rocsparse_index_base_S6_S6_S8_SB_PS9_SC_S6_S6_S8_SB_SD_SC_SB_SD_
; %bb.0:
	s_load_dword s3, s[4:5], 0x0
	v_lshrrev_b32_e32 v1, 3, v0
	s_lshl_b32 s33, s6, 10
	s_mov_b32 s0, exec_lo
	v_or_b32_e32 v1, s33, v1
	s_waitcnt lgkmcnt(0)
	v_cmpx_gt_i32_e64 s3, v1
	s_cbranch_execz .LBB31_51
; %bb.1:
	s_addk_i32 s33, 0x400
	v_cmp_gt_u32_e32 vcc_lo, s33, v1
	s_and_b32 exec_lo, exec_lo, vcc_lo
	s_cbranch_execz .LBB31_51
; %bb.2:
	s_clause 0x8
	s_load_dwordx4 s[36:39], s[4:5], 0x90
	s_load_dwordx8 s[8:15], s[4:5], 0x60
	s_load_dword s40, s[4:5], 0x28
	s_load_dwordx8 s[16:23], s[4:5], 0x30
	s_load_dwordx8 s[24:31], s[4:5], 0x8
	s_load_dwordx2 s[6:7], s[4:5], 0x50
	s_load_dword s41, s[4:5], 0x58
	s_load_dwordx2 s[34:35], s[4:5], 0x80
	s_load_dword s4, s[4:5], 0x88
	v_and_b32_e32 v0, 7, v0
	v_mov_b32_e32 v3, 0
	s_mov_b32 s5, 0
	s_waitcnt lgkmcnt(0)
	v_subrev_nc_u32_e32 v0, s40, v0
	s_branch .LBB31_4
.LBB31_3:                               ;   in Loop: Header=BB31_4 Depth=1
	s_or_b32 exec_lo, exec_lo, s42
	v_add_nc_u32_e32 v1, 0x80, v1
	v_cmp_le_u32_e32 vcc_lo, s33, v1
	s_or_b32 s5, vcc_lo, s5
	s_andn2_b32 exec_lo, exec_lo, s5
	s_cbranch_execz .LBB31_51
.LBB31_4:                               ; =>This Loop Header: Depth=1
                                        ;     Child Loop BB31_8 Depth 2
                                        ;       Child Loop BB31_12 Depth 3
                                        ;       Child Loop BB31_34 Depth 3
	;; [unrolled: 1-line block ×3, first 2 shown]
	s_mov_b32 s42, exec_lo
	v_cmpx_gt_i32_e64 s3, v1
	s_cbranch_execz .LBB31_3
; %bb.5:                                ;   in Loop: Header=BB31_4 Depth=1
	v_ashrrev_i32_e32 v2, 31, v1
	v_lshlrev_b64 v[5:6], 2, v[1:2]
	v_add_co_u32 v7, vcc_lo, s24, v5
	v_add_co_ci_u32_e64 v8, null, s25, v6, vcc_lo
	v_add_co_u32 v9, vcc_lo, s26, v5
	v_add_co_ci_u32_e64 v10, null, s27, v6, vcc_lo
	global_load_dword v2, v[7:8], off
	global_load_dword v7, v[9:10], off
	s_waitcnt vmcnt(1)
	v_add_nc_u32_e32 v4, v0, v2
	s_waitcnt vmcnt(0)
	v_subrev_nc_u32_e32 v13, s40, v7
	v_cmp_lt_i32_e32 vcc_lo, v4, v13
	s_and_b32 exec_lo, exec_lo, vcc_lo
	s_cbranch_execz .LBB31_3
; %bb.6:                                ;   in Loop: Header=BB31_4 Depth=1
	v_add_co_u32 v7, vcc_lo, s16, v5
	v_add_co_ci_u32_e64 v8, null, s17, v6, vcc_lo
	v_add_co_u32 v5, vcc_lo, s18, v5
	v_add_co_ci_u32_e64 v6, null, s19, v6, vcc_lo
	global_load_dword v2, v[7:8], off
	s_mov_b32 s43, 0
	global_load_dword v5, v[5:6], off
	s_waitcnt vmcnt(1)
	v_subrev_nc_u32_e32 v6, s41, v2
	s_waitcnt vmcnt(0)
	v_sub_nc_u32_e32 v14, v5, v2
	v_ashrrev_i32_e32 v7, 31, v6
	v_cmp_lt_i32_e64 s0, 0, v14
	v_lshlrev_b64 v[8:9], 2, v[6:7]
	v_lshlrev_b64 v[10:11], 3, v[6:7]
	v_add_co_u32 v15, vcc_lo, s20, v8
	v_add_co_ci_u32_e64 v16, null, s21, v9, vcc_lo
	v_add_co_u32 v17, vcc_lo, s22, v10
	v_add_co_ci_u32_e64 v18, null, s23, v11, vcc_lo
	s_branch .LBB31_8
.LBB31_7:                               ;   in Loop: Header=BB31_8 Depth=2
	s_or_b32 exec_lo, exec_lo, s2
	v_add_nc_u32_e32 v4, 8, v4
	v_cmp_ge_i32_e32 vcc_lo, v4, v13
	s_or_b32 s43, vcc_lo, s43
	s_andn2_b32 exec_lo, exec_lo, s43
	s_cbranch_execz .LBB31_3
.LBB31_8:                               ;   Parent Loop BB31_4 Depth=1
                                        ; =>  This Loop Header: Depth=2
                                        ;       Child Loop BB31_12 Depth 3
                                        ;       Child Loop BB31_34 Depth 3
	;; [unrolled: 1-line block ×3, first 2 shown]
	v_ashrrev_i32_e32 v5, 31, v4
	v_mov_b32_e32 v21, 0
	v_lshlrev_b64 v[7:8], 2, v[4:5]
	v_add_co_u32 v7, vcc_lo, s28, v7
	v_add_co_ci_u32_e64 v8, null, s29, v8, vcc_lo
	global_load_dword v2, v[7:8], off
	s_waitcnt vmcnt(0)
	v_subrev_nc_u32_e32 v7, s40, v2
	v_mov_b32_e32 v2, 0
	v_ashrrev_i32_e32 v8, 31, v7
	v_lshlrev_b64 v[9:10], 2, v[7:8]
	v_add_co_u32 v11, vcc_lo, s8, v9
	v_add_co_ci_u32_e64 v12, null, s9, v10, vcc_lo
	v_add_co_u32 v9, vcc_lo, s10, v9
	v_add_co_ci_u32_e64 v10, null, s11, v10, vcc_lo
	global_load_dword v11, v[11:12], off
	global_load_dword v10, v[9:10], off
	v_mov_b32_e32 v12, 0
	s_waitcnt vmcnt(1)
	v_subrev_nc_u32_e32 v9, s4, v11
	s_waitcnt vmcnt(0)
	v_sub_nc_u32_e32 v19, v10, v11
	v_mov_b32_e32 v10, v2
	s_and_saveexec_b32 s2, s0
	s_cbranch_execz .LBB31_16
; %bb.9:                                ;   in Loop: Header=BB31_8 Depth=2
	v_ashrrev_i32_e32 v10, 31, v9
	v_mov_b32_e32 v12, 0
	v_mov_b32_e32 v2, 0
	s_mov_b32 s44, 0
                                        ; implicit-def: $sgpr45
	v_lshlrev_b64 v[20:21], 2, v[9:10]
	v_lshlrev_b64 v[10:11], 3, v[9:10]
	v_add_co_u32 v20, vcc_lo, s12, v20
	v_add_co_ci_u32_e64 v22, null, s13, v21, vcc_lo
	v_add_co_u32 v23, vcc_lo, s14, v10
	v_add_co_ci_u32_e64 v24, null, s15, v11, vcc_lo
	v_mov_b32_e32 v10, 0
	v_mov_b32_e32 v21, 0
	s_branch .LBB31_12
.LBB31_10:                              ;   in Loop: Header=BB31_12 Depth=3
	s_or_b32 exec_lo, exec_lo, s1
	v_cmp_le_i32_e32 vcc_lo, v25, v26
	v_cmp_ge_i32_e64 s1, v25, v26
	v_add_co_ci_u32_e64 v2, null, 0, v2, vcc_lo
	v_add_co_ci_u32_e64 v10, null, 0, v10, s1
	s_andn2_b32 s1, s45, exec_lo
	v_cmp_ge_i32_e32 vcc_lo, v2, v14
	s_and_b32 s45, vcc_lo, exec_lo
	s_or_b32 s45, s1, s45
.LBB31_11:                              ;   in Loop: Header=BB31_12 Depth=3
	s_or_b32 exec_lo, exec_lo, s46
	s_and_b32 s1, exec_lo, s45
	s_or_b32 s44, s1, s44
	s_andn2_b32 exec_lo, exec_lo, s44
	s_cbranch_execz .LBB31_15
.LBB31_12:                              ;   Parent Loop BB31_4 Depth=1
                                        ;     Parent Loop BB31_8 Depth=2
                                        ; =>    This Inner Loop Header: Depth=3
	s_or_b32 s45, s45, exec_lo
	s_mov_b32 s46, exec_lo
	v_cmpx_lt_i32_e64 v10, v19
	s_cbranch_execz .LBB31_11
; %bb.13:                               ;   in Loop: Header=BB31_12 Depth=3
	v_mov_b32_e32 v11, v3
	v_lshlrev_b64 v[25:26], 2, v[2:3]
	s_mov_b32 s1, exec_lo
	v_lshlrev_b64 v[27:28], 2, v[10:11]
	v_add_co_u32 v25, vcc_lo, v15, v25
	v_add_co_ci_u32_e64 v26, null, v16, v26, vcc_lo
	v_add_co_u32 v27, vcc_lo, v20, v27
	v_add_co_ci_u32_e64 v28, null, v22, v28, vcc_lo
	global_load_dword v25, v[25:26], off
	global_load_dword v26, v[27:28], off
	s_waitcnt vmcnt(1)
	v_subrev_nc_u32_e32 v25, s41, v25
	s_waitcnt vmcnt(0)
	v_subrev_nc_u32_e32 v26, s4, v26
	v_cmpx_eq_u32_e64 v25, v26
	s_cbranch_execz .LBB31_10
; %bb.14:                               ;   in Loop: Header=BB31_12 Depth=3
	v_lshlrev_b64 v[27:28], 3, v[2:3]
	v_lshlrev_b64 v[29:30], 3, v[10:11]
	v_add_co_u32 v27, vcc_lo, v17, v27
	v_add_co_ci_u32_e64 v28, null, v18, v28, vcc_lo
	v_add_co_u32 v29, vcc_lo, v23, v29
	v_add_co_ci_u32_e64 v30, null, v24, v30, vcc_lo
	global_load_dwordx2 v[27:28], v[27:28], off
	global_load_dwordx2 v[29:30], v[29:30], off
	s_waitcnt vmcnt(0)
	v_fmac_f32_e32 v12, v27, v29
	v_fmac_f32_e32 v21, v28, v29
	v_fma_f32 v12, -v28, v30, v12
	v_fmac_f32_e32 v21, v27, v30
	s_branch .LBB31_10
.LBB31_15:                              ;   in Loop: Header=BB31_8 Depth=2
	s_or_b32 exec_lo, exec_lo, s44
.LBB31_16:                              ;   in Loop: Header=BB31_8 Depth=2
	s_or_b32 exec_lo, exec_lo, s2
	v_lshlrev_b64 v[22:23], 3, v[4:5]
	v_cmp_le_i32_e64 s1, v1, v7
	s_mov_b32 s2, exec_lo
	v_add_co_u32 v22, vcc_lo, s30, v22
	v_add_co_ci_u32_e64 v23, null, s31, v23, vcc_lo
	global_load_dwordx2 v[22:23], v[22:23], off
	s_waitcnt vmcnt(0)
	v_sub_f32_e32 v20, v22, v12
	v_sub_f32_e32 v5, v23, v21
	v_cmpx_gt_i32_e64 v1, v7
	s_cbranch_execz .LBB31_18
; %bb.17:                               ;   in Loop: Header=BB31_8 Depth=2
	v_lshlrev_b64 v[11:12], 3, v[7:8]
	v_add_co_u32 v11, vcc_lo, s36, v11
	v_add_co_ci_u32_e64 v12, null, s37, v12, vcc_lo
	global_load_dwordx2 v[11:12], v[11:12], off
	s_waitcnt vmcnt(0)
	v_mul_f32_e32 v21, v12, v12
	v_fmac_f32_e32 v21, v11, v11
	v_div_scale_f32 v22, null, v21, v21, 1.0
	v_div_scale_f32 v25, vcc_lo, 1.0, v21, 1.0
	v_rcp_f32_e32 v23, v22
	v_fma_f32 v24, -v22, v23, 1.0
	v_fmac_f32_e32 v23, v24, v23
	v_mul_f32_e32 v24, v25, v23
	v_fma_f32 v26, -v22, v24, v25
	v_fmac_f32_e32 v24, v26, v23
	v_fma_f32 v22, -v22, v24, v25
	v_div_fmas_f32 v22, v22, v23, v24
	v_mul_f32_e32 v23, v5, v12
	v_mul_f32_e64 v12, v12, -v20
	v_div_fixup_f32 v21, v22, v21, 1.0
	v_fmac_f32_e32 v23, v20, v11
	v_fmac_f32_e32 v12, v5, v11
	v_mul_f32_e32 v20, v23, v21
	v_mul_f32_e32 v5, v12, v21
.LBB31_18:                              ;   in Loop: Header=BB31_8 Depth=2
	s_or_b32 exec_lo, exec_lo, s2
	v_cmp_gt_f32_e32 vcc_lo, 0, v20
                                        ; implicit-def: $vgpr21
	s_mov_b32 s2, exec_lo
	v_cndmask_b32_e64 v11, v20, -v20, vcc_lo
	v_cmp_gt_f32_e32 vcc_lo, 0, v5
	v_cndmask_b32_e64 v12, v5, -v5, vcc_lo
	v_cmpx_ngt_f32_e32 v11, v12
	s_xor_b32 s44, exec_lo, s2
	s_cbranch_execnz .LBB31_21
; %bb.19:                               ;   in Loop: Header=BB31_8 Depth=2
	s_andn2_saveexec_b32 s44, s44
	s_cbranch_execnz .LBB31_24
.LBB31_20:                              ;   in Loop: Header=BB31_8 Depth=2
	s_or_b32 exec_lo, exec_lo, s44
	v_cmp_class_f32_e64 s44, v21, 0x1f8
	s_and_saveexec_b32 s2, s44
	s_cbranch_execz .LBB31_7
	s_branch .LBB31_25
.LBB31_21:                              ;   in Loop: Header=BB31_8 Depth=2
	v_mov_b32_e32 v21, 0
	s_mov_b32 s45, exec_lo
	v_cmpx_neq_f32_e32 0, v5
	s_cbranch_execz .LBB31_23
; %bb.22:                               ;   in Loop: Header=BB31_8 Depth=2
	v_div_scale_f32 v21, null, v12, v12, v11
	v_div_scale_f32 v24, vcc_lo, v11, v12, v11
	v_rcp_f32_e32 v22, v21
	v_fma_f32 v23, -v21, v22, 1.0
	v_fmac_f32_e32 v22, v23, v22
	v_mul_f32_e32 v23, v24, v22
	v_fma_f32 v25, -v21, v23, v24
	v_fmac_f32_e32 v23, v25, v22
	v_fma_f32 v21, -v21, v23, v24
	v_div_fmas_f32 v21, v21, v22, v23
	v_div_fixup_f32 v11, v21, v12, v11
	v_fma_f32 v11, v11, v11, 1.0
	v_mul_f32_e32 v21, 0x4f800000, v11
	v_cmp_gt_f32_e32 vcc_lo, 0xf800000, v11
	v_cndmask_b32_e32 v11, v11, v21, vcc_lo
	v_sqrt_f32_e32 v21, v11
	v_add_nc_u32_e32 v22, -1, v21
	v_add_nc_u32_e32 v23, 1, v21
	v_fma_f32 v24, -v22, v21, v11
	v_fma_f32 v25, -v23, v21, v11
	v_cmp_ge_f32_e64 s2, 0, v24
	v_cndmask_b32_e64 v21, v21, v22, s2
	v_cmp_lt_f32_e64 s2, 0, v25
	v_cndmask_b32_e64 v21, v21, v23, s2
	v_mul_f32_e32 v22, 0x37800000, v21
	v_cndmask_b32_e32 v21, v21, v22, vcc_lo
	v_cmp_class_f32_e64 vcc_lo, v11, 0x260
	v_cndmask_b32_e32 v11, v21, v11, vcc_lo
	v_mul_f32_e32 v21, v12, v11
.LBB31_23:                              ;   in Loop: Header=BB31_8 Depth=2
	s_or_b32 exec_lo, exec_lo, s45
                                        ; implicit-def: $vgpr11
                                        ; implicit-def: $vgpr12
	s_andn2_saveexec_b32 s44, s44
	s_cbranch_execz .LBB31_20
.LBB31_24:                              ;   in Loop: Header=BB31_8 Depth=2
	v_div_scale_f32 v21, null, v11, v11, v12
	v_div_scale_f32 v24, vcc_lo, v12, v11, v12
	v_rcp_f32_e32 v22, v21
	v_fma_f32 v23, -v21, v22, 1.0
	v_fmac_f32_e32 v22, v23, v22
	v_mul_f32_e32 v23, v24, v22
	v_fma_f32 v25, -v21, v23, v24
	v_fmac_f32_e32 v23, v25, v22
	v_fma_f32 v21, -v21, v23, v24
	v_div_fmas_f32 v21, v21, v22, v23
	v_div_fixup_f32 v12, v21, v11, v12
	v_fma_f32 v12, v12, v12, 1.0
	v_mul_f32_e32 v21, 0x4f800000, v12
	v_cmp_gt_f32_e32 vcc_lo, 0xf800000, v12
	v_cndmask_b32_e32 v12, v12, v21, vcc_lo
	v_sqrt_f32_e32 v21, v12
	v_add_nc_u32_e32 v22, -1, v21
	v_add_nc_u32_e32 v23, 1, v21
	v_fma_f32 v24, -v22, v21, v12
	v_fma_f32 v25, -v23, v21, v12
	v_cmp_ge_f32_e64 s2, 0, v24
	v_cndmask_b32_e64 v21, v21, v22, s2
	v_cmp_lt_f32_e64 s2, 0, v25
	v_cndmask_b32_e64 v21, v21, v23, s2
	v_mul_f32_e32 v22, 0x37800000, v21
	v_cndmask_b32_e32 v21, v21, v22, vcc_lo
	v_cmp_class_f32_e64 vcc_lo, v12, 0x260
	v_cndmask_b32_e32 v12, v21, v12, vcc_lo
	v_mul_f32_e32 v21, v11, v12
	s_or_b32 exec_lo, exec_lo, s44
	v_cmp_class_f32_e64 s44, v21, 0x1f8
	s_and_saveexec_b32 s2, s44
	s_cbranch_execz .LBB31_7
.LBB31_25:                              ;   in Loop: Header=BB31_8 Depth=2
	s_mov_b32 s44, 0
                                        ; implicit-def: $vgpr11_vgpr12
	s_and_saveexec_b32 s45, s1
	s_xor_b32 s1, exec_lo, s45
	s_cbranch_execnz .LBB31_28
; %bb.26:                               ;   in Loop: Header=BB31_8 Depth=2
	s_andn2_saveexec_b32 s1, s1
	s_cbranch_execnz .LBB31_41
.LBB31_27:                              ;   in Loop: Header=BB31_8 Depth=2
	s_or_b32 exec_lo, exec_lo, s1
	s_and_b32 exec_lo, exec_lo, s44
	s_cbranch_execz .LBB31_7
	s_branch .LBB31_50
.LBB31_28:                              ;   in Loop: Header=BB31_8 Depth=2
	s_mov_b32 s45, exec_lo
                                        ; implicit-def: $vgpr11_vgpr12
	v_cmpx_ge_i32_e64 v1, v7
	s_xor_b32 s45, exec_lo, s45
	s_cbranch_execz .LBB31_30
; %bb.29:                               ;   in Loop: Header=BB31_8 Depth=2
	v_lshlrev_b64 v[7:8], 3, v[7:8]
	s_mov_b32 s44, exec_lo
                                        ; implicit-def: $vgpr10
                                        ; implicit-def: $vgpr19
                                        ; implicit-def: $vgpr9
	v_add_co_u32 v11, vcc_lo, s38, v7
	v_add_co_ci_u32_e64 v12, null, s39, v8, vcc_lo
	global_store_dword v[11:12], v20, off
                                        ; implicit-def: $vgpr20
.LBB31_30:                              ;   in Loop: Header=BB31_8 Depth=2
	s_andn2_saveexec_b32 s45, s45
	s_cbranch_execz .LBB31_40
; %bb.31:                               ;   in Loop: Header=BB31_8 Depth=2
	s_mov_b32 s47, s44
	s_mov_b32 s46, exec_lo
                                        ; implicit-def: $vgpr11_vgpr12
	v_cmpx_lt_i32_e64 v10, v19
	s_cbranch_execz .LBB31_39
; %bb.32:                               ;   in Loop: Header=BB31_8 Depth=2
	s_mov_b32 s48, 0
                                        ; implicit-def: $sgpr47
                                        ; implicit-def: $sgpr50
                                        ; implicit-def: $sgpr49
	s_inst_prefetch 0x1
	s_branch .LBB31_34
	.p2align	6
.LBB31_33:                              ;   in Loop: Header=BB31_34 Depth=3
	s_or_b32 exec_lo, exec_lo, s51
	s_and_b32 s51, exec_lo, s50
	s_or_b32 s48, s51, s48
	s_andn2_b32 s47, s47, exec_lo
	s_and_b32 s51, s49, exec_lo
	s_or_b32 s47, s47, s51
	s_andn2_b32 exec_lo, exec_lo, s48
	s_cbranch_execz .LBB31_36
.LBB31_34:                              ;   Parent Loop BB31_4 Depth=1
                                        ;     Parent Loop BB31_8 Depth=2
                                        ; =>    This Inner Loop Header: Depth=3
	v_add_nc_u32_e32 v7, v9, v10
	s_or_b32 s49, s49, exec_lo
	s_or_b32 s50, s50, exec_lo
	s_mov_b32 s51, exec_lo
	v_ashrrev_i32_e32 v8, 31, v7
	v_lshlrev_b64 v[11:12], 2, v[7:8]
	v_add_co_u32 v11, vcc_lo, s12, v11
	v_add_co_ci_u32_e64 v12, null, s13, v12, vcc_lo
	global_load_dword v2, v[11:12], off
	s_waitcnt vmcnt(0)
	v_subrev_nc_u32_e32 v2, s4, v2
	v_cmpx_ne_u32_e64 v2, v1
	s_cbranch_execz .LBB31_33
; %bb.35:                               ;   in Loop: Header=BB31_34 Depth=3
	v_add_nc_u32_e32 v10, 1, v10
	s_andn2_b32 s50, s50, exec_lo
	s_andn2_b32 s49, s49, exec_lo
	v_cmp_ge_i32_e32 vcc_lo, v10, v19
	s_and_b32 s52, vcc_lo, exec_lo
	s_or_b32 s50, s50, s52
	s_branch .LBB31_33
.LBB31_36:                              ;   in Loop: Header=BB31_8 Depth=2
	s_inst_prefetch 0x2
	s_or_b32 exec_lo, exec_lo, s48
	s_mov_b32 s48, s44
                                        ; implicit-def: $vgpr11_vgpr12
	s_and_saveexec_b32 s49, s47
	s_xor_b32 s47, exec_lo, s49
	s_cbranch_execz .LBB31_38
; %bb.37:                               ;   in Loop: Header=BB31_8 Depth=2
	v_lshlrev_b64 v[7:8], 3, v[7:8]
	s_or_b32 s48, s44, exec_lo
	v_add_co_u32 v11, vcc_lo, s34, v7
	v_add_co_ci_u32_e64 v12, null, s35, v8, vcc_lo
	global_store_dword v[11:12], v20, off
.LBB31_38:                              ;   in Loop: Header=BB31_8 Depth=2
	s_or_b32 exec_lo, exec_lo, s47
	s_andn2_b32 s47, s44, exec_lo
	s_and_b32 s48, s48, exec_lo
	s_or_b32 s47, s47, s48
.LBB31_39:                              ;   in Loop: Header=BB31_8 Depth=2
	s_or_b32 exec_lo, exec_lo, s46
	s_andn2_b32 s44, s44, exec_lo
	s_and_b32 s46, s47, exec_lo
	s_or_b32 s44, s44, s46
.LBB31_40:                              ;   in Loop: Header=BB31_8 Depth=2
	s_or_b32 exec_lo, exec_lo, s45
	s_and_b32 s44, s44, exec_lo
                                        ; implicit-def: $vgpr20
                                        ; implicit-def: $vgpr7_vgpr8
	s_andn2_saveexec_b32 s1, s1
	s_cbranch_execz .LBB31_27
.LBB31_41:                              ;   in Loop: Header=BB31_8 Depth=2
	s_mov_b32 s46, s44
	s_mov_b32 s45, exec_lo
                                        ; implicit-def: $vgpr11_vgpr12
	v_cmpx_lt_i32_e64 v2, v14
	s_cbranch_execz .LBB31_49
; %bb.42:                               ;   in Loop: Header=BB31_8 Depth=2
	s_mov_b32 s47, 0
                                        ; implicit-def: $sgpr46
                                        ; implicit-def: $sgpr49
                                        ; implicit-def: $sgpr48
	s_inst_prefetch 0x1
	s_branch .LBB31_44
	.p2align	6
.LBB31_43:                              ;   in Loop: Header=BB31_44 Depth=3
	s_or_b32 exec_lo, exec_lo, s50
	s_and_b32 s50, exec_lo, s49
	s_or_b32 s47, s50, s47
	s_andn2_b32 s46, s46, exec_lo
	s_and_b32 s50, s48, exec_lo
	s_or_b32 s46, s46, s50
	s_andn2_b32 exec_lo, exec_lo, s47
	s_cbranch_execz .LBB31_46
.LBB31_44:                              ;   Parent Loop BB31_4 Depth=1
                                        ;     Parent Loop BB31_8 Depth=2
                                        ; =>    This Inner Loop Header: Depth=3
	v_add_nc_u32_e32 v8, v6, v2
	s_or_b32 s48, s48, exec_lo
	s_or_b32 s49, s49, exec_lo
	s_mov_b32 s50, exec_lo
	v_ashrrev_i32_e32 v9, 31, v8
	v_lshlrev_b64 v[10:11], 2, v[8:9]
	v_add_co_u32 v10, vcc_lo, s20, v10
	v_add_co_ci_u32_e64 v11, null, s21, v11, vcc_lo
	global_load_dword v10, v[10:11], off
	s_waitcnt vmcnt(0)
	v_subrev_nc_u32_e32 v10, s41, v10
	v_cmpx_ne_u32_e64 v10, v7
	s_cbranch_execz .LBB31_43
; %bb.45:                               ;   in Loop: Header=BB31_44 Depth=3
	v_add_nc_u32_e32 v2, 1, v2
	s_andn2_b32 s49, s49, exec_lo
	s_andn2_b32 s48, s48, exec_lo
	v_cmp_ge_i32_e32 vcc_lo, v2, v14
	s_and_b32 s51, vcc_lo, exec_lo
	s_or_b32 s49, s49, s51
	s_branch .LBB31_43
.LBB31_46:                              ;   in Loop: Header=BB31_8 Depth=2
	s_inst_prefetch 0x2
	s_or_b32 exec_lo, exec_lo, s47
	s_mov_b32 s47, s44
                                        ; implicit-def: $vgpr11_vgpr12
	s_and_saveexec_b32 s48, s46
	s_xor_b32 s46, exec_lo, s48
	s_cbranch_execz .LBB31_48
; %bb.47:                               ;   in Loop: Header=BB31_8 Depth=2
	v_lshlrev_b64 v[7:8], 3, v[8:9]
	s_or_b32 s47, s44, exec_lo
	v_add_co_u32 v11, vcc_lo, s6, v7
	v_add_co_ci_u32_e64 v12, null, s7, v8, vcc_lo
	global_store_dword v[11:12], v20, off
.LBB31_48:                              ;   in Loop: Header=BB31_8 Depth=2
	s_or_b32 exec_lo, exec_lo, s46
	s_andn2_b32 s46, s44, exec_lo
	s_and_b32 s47, s47, exec_lo
	s_or_b32 s46, s46, s47
.LBB31_49:                              ;   in Loop: Header=BB31_8 Depth=2
	s_or_b32 exec_lo, exec_lo, s45
	s_andn2_b32 s44, s44, exec_lo
	s_and_b32 s45, s46, exec_lo
	s_or_b32 s44, s44, s45
	s_or_b32 exec_lo, exec_lo, s1
	s_and_b32 exec_lo, exec_lo, s44
	s_cbranch_execz .LBB31_7
.LBB31_50:                              ;   in Loop: Header=BB31_8 Depth=2
	global_store_dword v[11:12], v5, off offset:4
	s_branch .LBB31_7
.LBB31_51:
	s_endpgm
	.section	.rodata,"a",@progbits
	.p2align	6, 0x0
	.amdhsa_kernel _ZN9rocsparseL17kernel_correctionILi1024ELi8E21rocsparse_complex_numIfEiiEEvT3_T2_PKS4_S6_PKS3_PKT1_21rocsparse_index_base_S6_S6_S8_SB_PS9_SC_S6_S6_S8_SB_SD_SC_SB_SD_
		.amdhsa_group_segment_fixed_size 0
		.amdhsa_private_segment_fixed_size 0
		.amdhsa_kernarg_size 160
		.amdhsa_user_sgpr_count 6
		.amdhsa_user_sgpr_private_segment_buffer 1
		.amdhsa_user_sgpr_dispatch_ptr 0
		.amdhsa_user_sgpr_queue_ptr 0
		.amdhsa_user_sgpr_kernarg_segment_ptr 1
		.amdhsa_user_sgpr_dispatch_id 0
		.amdhsa_user_sgpr_flat_scratch_init 0
		.amdhsa_user_sgpr_private_segment_size 0
		.amdhsa_wavefront_size32 1
		.amdhsa_uses_dynamic_stack 0
		.amdhsa_system_sgpr_private_segment_wavefront_offset 0
		.amdhsa_system_sgpr_workgroup_id_x 1
		.amdhsa_system_sgpr_workgroup_id_y 0
		.amdhsa_system_sgpr_workgroup_id_z 0
		.amdhsa_system_sgpr_workgroup_info 0
		.amdhsa_system_vgpr_workitem_id 0
		.amdhsa_next_free_vgpr 31
		.amdhsa_next_free_sgpr 53
		.amdhsa_reserve_vcc 1
		.amdhsa_reserve_flat_scratch 0
		.amdhsa_float_round_mode_32 0
		.amdhsa_float_round_mode_16_64 0
		.amdhsa_float_denorm_mode_32 3
		.amdhsa_float_denorm_mode_16_64 3
		.amdhsa_dx10_clamp 1
		.amdhsa_ieee_mode 1
		.amdhsa_fp16_overflow 0
		.amdhsa_workgroup_processor_mode 1
		.amdhsa_memory_ordered 1
		.amdhsa_forward_progress 1
		.amdhsa_shared_vgpr_count 0
		.amdhsa_exception_fp_ieee_invalid_op 0
		.amdhsa_exception_fp_denorm_src 0
		.amdhsa_exception_fp_ieee_div_zero 0
		.amdhsa_exception_fp_ieee_overflow 0
		.amdhsa_exception_fp_ieee_underflow 0
		.amdhsa_exception_fp_ieee_inexact 0
		.amdhsa_exception_int_div_zero 0
	.end_amdhsa_kernel
	.section	.text._ZN9rocsparseL17kernel_correctionILi1024ELi8E21rocsparse_complex_numIfEiiEEvT3_T2_PKS4_S6_PKS3_PKT1_21rocsparse_index_base_S6_S6_S8_SB_PS9_SC_S6_S6_S8_SB_SD_SC_SB_SD_,"axG",@progbits,_ZN9rocsparseL17kernel_correctionILi1024ELi8E21rocsparse_complex_numIfEiiEEvT3_T2_PKS4_S6_PKS3_PKT1_21rocsparse_index_base_S6_S6_S8_SB_PS9_SC_S6_S6_S8_SB_SD_SC_SB_SD_,comdat
.Lfunc_end31:
	.size	_ZN9rocsparseL17kernel_correctionILi1024ELi8E21rocsparse_complex_numIfEiiEEvT3_T2_PKS4_S6_PKS3_PKT1_21rocsparse_index_base_S6_S6_S8_SB_PS9_SC_S6_S6_S8_SB_SD_SC_SB_SD_, .Lfunc_end31-_ZN9rocsparseL17kernel_correctionILi1024ELi8E21rocsparse_complex_numIfEiiEEvT3_T2_PKS4_S6_PKS3_PKT1_21rocsparse_index_base_S6_S6_S8_SB_PS9_SC_S6_S6_S8_SB_SD_SC_SB_SD_
                                        ; -- End function
	.set _ZN9rocsparseL17kernel_correctionILi1024ELi8E21rocsparse_complex_numIfEiiEEvT3_T2_PKS4_S6_PKS3_PKT1_21rocsparse_index_base_S6_S6_S8_SB_PS9_SC_S6_S6_S8_SB_SD_SC_SB_SD_.num_vgpr, 31
	.set _ZN9rocsparseL17kernel_correctionILi1024ELi8E21rocsparse_complex_numIfEiiEEvT3_T2_PKS4_S6_PKS3_PKT1_21rocsparse_index_base_S6_S6_S8_SB_PS9_SC_S6_S6_S8_SB_SD_SC_SB_SD_.num_agpr, 0
	.set _ZN9rocsparseL17kernel_correctionILi1024ELi8E21rocsparse_complex_numIfEiiEEvT3_T2_PKS4_S6_PKS3_PKT1_21rocsparse_index_base_S6_S6_S8_SB_PS9_SC_S6_S6_S8_SB_SD_SC_SB_SD_.numbered_sgpr, 53
	.set _ZN9rocsparseL17kernel_correctionILi1024ELi8E21rocsparse_complex_numIfEiiEEvT3_T2_PKS4_S6_PKS3_PKT1_21rocsparse_index_base_S6_S6_S8_SB_PS9_SC_S6_S6_S8_SB_SD_SC_SB_SD_.num_named_barrier, 0
	.set _ZN9rocsparseL17kernel_correctionILi1024ELi8E21rocsparse_complex_numIfEiiEEvT3_T2_PKS4_S6_PKS3_PKT1_21rocsparse_index_base_S6_S6_S8_SB_PS9_SC_S6_S6_S8_SB_SD_SC_SB_SD_.private_seg_size, 0
	.set _ZN9rocsparseL17kernel_correctionILi1024ELi8E21rocsparse_complex_numIfEiiEEvT3_T2_PKS4_S6_PKS3_PKT1_21rocsparse_index_base_S6_S6_S8_SB_PS9_SC_S6_S6_S8_SB_SD_SC_SB_SD_.uses_vcc, 1
	.set _ZN9rocsparseL17kernel_correctionILi1024ELi8E21rocsparse_complex_numIfEiiEEvT3_T2_PKS4_S6_PKS3_PKT1_21rocsparse_index_base_S6_S6_S8_SB_PS9_SC_S6_S6_S8_SB_SD_SC_SB_SD_.uses_flat_scratch, 0
	.set _ZN9rocsparseL17kernel_correctionILi1024ELi8E21rocsparse_complex_numIfEiiEEvT3_T2_PKS4_S6_PKS3_PKT1_21rocsparse_index_base_S6_S6_S8_SB_PS9_SC_S6_S6_S8_SB_SD_SC_SB_SD_.has_dyn_sized_stack, 0
	.set _ZN9rocsparseL17kernel_correctionILi1024ELi8E21rocsparse_complex_numIfEiiEEvT3_T2_PKS4_S6_PKS3_PKT1_21rocsparse_index_base_S6_S6_S8_SB_PS9_SC_S6_S6_S8_SB_SD_SC_SB_SD_.has_recursion, 0
	.set _ZN9rocsparseL17kernel_correctionILi1024ELi8E21rocsparse_complex_numIfEiiEEvT3_T2_PKS4_S6_PKS3_PKT1_21rocsparse_index_base_S6_S6_S8_SB_PS9_SC_S6_S6_S8_SB_SD_SC_SB_SD_.has_indirect_call, 0
	.section	.AMDGPU.csdata,"",@progbits
; Kernel info:
; codeLenInByte = 2428
; TotalNumSgprs: 55
; NumVgprs: 31
; ScratchSize: 0
; MemoryBound: 0
; FloatMode: 240
; IeeeMode: 1
; LDSByteSize: 0 bytes/workgroup (compile time only)
; SGPRBlocks: 0
; VGPRBlocks: 3
; NumSGPRsForWavesPerEU: 55
; NumVGPRsForWavesPerEU: 31
; Occupancy: 16
; WaveLimiterHint : 1
; COMPUTE_PGM_RSRC2:SCRATCH_EN: 0
; COMPUTE_PGM_RSRC2:USER_SGPR: 6
; COMPUTE_PGM_RSRC2:TRAP_HANDLER: 0
; COMPUTE_PGM_RSRC2:TGID_X_EN: 1
; COMPUTE_PGM_RSRC2:TGID_Y_EN: 0
; COMPUTE_PGM_RSRC2:TGID_Z_EN: 0
; COMPUTE_PGM_RSRC2:TIDIG_COMP_CNT: 0
	.section	.text._ZN9rocsparseL17kernel_correctionILi1024ELi16E21rocsparse_complex_numIfEiiEEvT3_T2_PKS4_S6_PKS3_PKT1_21rocsparse_index_base_S6_S6_S8_SB_PS9_SC_S6_S6_S8_SB_SD_SC_SB_SD_,"axG",@progbits,_ZN9rocsparseL17kernel_correctionILi1024ELi16E21rocsparse_complex_numIfEiiEEvT3_T2_PKS4_S6_PKS3_PKT1_21rocsparse_index_base_S6_S6_S8_SB_PS9_SC_S6_S6_S8_SB_SD_SC_SB_SD_,comdat
	.globl	_ZN9rocsparseL17kernel_correctionILi1024ELi16E21rocsparse_complex_numIfEiiEEvT3_T2_PKS4_S6_PKS3_PKT1_21rocsparse_index_base_S6_S6_S8_SB_PS9_SC_S6_S6_S8_SB_SD_SC_SB_SD_ ; -- Begin function _ZN9rocsparseL17kernel_correctionILi1024ELi16E21rocsparse_complex_numIfEiiEEvT3_T2_PKS4_S6_PKS3_PKT1_21rocsparse_index_base_S6_S6_S8_SB_PS9_SC_S6_S6_S8_SB_SD_SC_SB_SD_
	.p2align	8
	.type	_ZN9rocsparseL17kernel_correctionILi1024ELi16E21rocsparse_complex_numIfEiiEEvT3_T2_PKS4_S6_PKS3_PKT1_21rocsparse_index_base_S6_S6_S8_SB_PS9_SC_S6_S6_S8_SB_SD_SC_SB_SD_,@function
_ZN9rocsparseL17kernel_correctionILi1024ELi16E21rocsparse_complex_numIfEiiEEvT3_T2_PKS4_S6_PKS3_PKT1_21rocsparse_index_base_S6_S6_S8_SB_PS9_SC_S6_S6_S8_SB_SD_SC_SB_SD_: ; @_ZN9rocsparseL17kernel_correctionILi1024ELi16E21rocsparse_complex_numIfEiiEEvT3_T2_PKS4_S6_PKS3_PKT1_21rocsparse_index_base_S6_S6_S8_SB_PS9_SC_S6_S6_S8_SB_SD_SC_SB_SD_
; %bb.0:
	s_load_dword s3, s[4:5], 0x0
	v_lshrrev_b32_e32 v1, 4, v0
	s_lshl_b32 s33, s6, 10
	s_mov_b32 s0, exec_lo
	v_or_b32_e32 v1, s33, v1
	s_waitcnt lgkmcnt(0)
	v_cmpx_gt_i32_e64 s3, v1
	s_cbranch_execz .LBB32_51
; %bb.1:
	s_addk_i32 s33, 0x400
	v_cmp_gt_u32_e32 vcc_lo, s33, v1
	s_and_b32 exec_lo, exec_lo, vcc_lo
	s_cbranch_execz .LBB32_51
; %bb.2:
	s_clause 0x8
	s_load_dwordx4 s[36:39], s[4:5], 0x90
	s_load_dwordx8 s[8:15], s[4:5], 0x60
	s_load_dword s40, s[4:5], 0x28
	s_load_dwordx8 s[16:23], s[4:5], 0x30
	s_load_dwordx8 s[24:31], s[4:5], 0x8
	s_load_dwordx2 s[6:7], s[4:5], 0x50
	s_load_dword s41, s[4:5], 0x58
	s_load_dwordx2 s[34:35], s[4:5], 0x80
	s_load_dword s4, s[4:5], 0x88
	v_and_b32_e32 v0, 15, v0
	v_mov_b32_e32 v3, 0
	s_mov_b32 s5, 0
	s_waitcnt lgkmcnt(0)
	v_subrev_nc_u32_e32 v0, s40, v0
	s_branch .LBB32_4
.LBB32_3:                               ;   in Loop: Header=BB32_4 Depth=1
	s_or_b32 exec_lo, exec_lo, s42
	v_add_nc_u32_e32 v1, 64, v1
	v_cmp_le_u32_e32 vcc_lo, s33, v1
	s_or_b32 s5, vcc_lo, s5
	s_andn2_b32 exec_lo, exec_lo, s5
	s_cbranch_execz .LBB32_51
.LBB32_4:                               ; =>This Loop Header: Depth=1
                                        ;     Child Loop BB32_8 Depth 2
                                        ;       Child Loop BB32_12 Depth 3
                                        ;       Child Loop BB32_34 Depth 3
	;; [unrolled: 1-line block ×3, first 2 shown]
	s_mov_b32 s42, exec_lo
	v_cmpx_gt_i32_e64 s3, v1
	s_cbranch_execz .LBB32_3
; %bb.5:                                ;   in Loop: Header=BB32_4 Depth=1
	v_ashrrev_i32_e32 v2, 31, v1
	v_lshlrev_b64 v[5:6], 2, v[1:2]
	v_add_co_u32 v7, vcc_lo, s24, v5
	v_add_co_ci_u32_e64 v8, null, s25, v6, vcc_lo
	v_add_co_u32 v9, vcc_lo, s26, v5
	v_add_co_ci_u32_e64 v10, null, s27, v6, vcc_lo
	global_load_dword v2, v[7:8], off
	global_load_dword v7, v[9:10], off
	s_waitcnt vmcnt(1)
	v_add_nc_u32_e32 v4, v0, v2
	s_waitcnt vmcnt(0)
	v_subrev_nc_u32_e32 v13, s40, v7
	v_cmp_lt_i32_e32 vcc_lo, v4, v13
	s_and_b32 exec_lo, exec_lo, vcc_lo
	s_cbranch_execz .LBB32_3
; %bb.6:                                ;   in Loop: Header=BB32_4 Depth=1
	v_add_co_u32 v7, vcc_lo, s16, v5
	v_add_co_ci_u32_e64 v8, null, s17, v6, vcc_lo
	v_add_co_u32 v5, vcc_lo, s18, v5
	v_add_co_ci_u32_e64 v6, null, s19, v6, vcc_lo
	global_load_dword v2, v[7:8], off
	s_mov_b32 s43, 0
	global_load_dword v5, v[5:6], off
	s_waitcnt vmcnt(1)
	v_subrev_nc_u32_e32 v6, s41, v2
	s_waitcnt vmcnt(0)
	v_sub_nc_u32_e32 v14, v5, v2
	v_ashrrev_i32_e32 v7, 31, v6
	v_cmp_lt_i32_e64 s0, 0, v14
	v_lshlrev_b64 v[8:9], 2, v[6:7]
	v_lshlrev_b64 v[10:11], 3, v[6:7]
	v_add_co_u32 v15, vcc_lo, s20, v8
	v_add_co_ci_u32_e64 v16, null, s21, v9, vcc_lo
	v_add_co_u32 v17, vcc_lo, s22, v10
	v_add_co_ci_u32_e64 v18, null, s23, v11, vcc_lo
	s_branch .LBB32_8
.LBB32_7:                               ;   in Loop: Header=BB32_8 Depth=2
	s_or_b32 exec_lo, exec_lo, s2
	v_add_nc_u32_e32 v4, 16, v4
	v_cmp_ge_i32_e32 vcc_lo, v4, v13
	s_or_b32 s43, vcc_lo, s43
	s_andn2_b32 exec_lo, exec_lo, s43
	s_cbranch_execz .LBB32_3
.LBB32_8:                               ;   Parent Loop BB32_4 Depth=1
                                        ; =>  This Loop Header: Depth=2
                                        ;       Child Loop BB32_12 Depth 3
                                        ;       Child Loop BB32_34 Depth 3
	;; [unrolled: 1-line block ×3, first 2 shown]
	v_ashrrev_i32_e32 v5, 31, v4
	v_mov_b32_e32 v21, 0
	v_lshlrev_b64 v[7:8], 2, v[4:5]
	v_add_co_u32 v7, vcc_lo, s28, v7
	v_add_co_ci_u32_e64 v8, null, s29, v8, vcc_lo
	global_load_dword v2, v[7:8], off
	s_waitcnt vmcnt(0)
	v_subrev_nc_u32_e32 v7, s40, v2
	v_mov_b32_e32 v2, 0
	v_ashrrev_i32_e32 v8, 31, v7
	v_lshlrev_b64 v[9:10], 2, v[7:8]
	v_add_co_u32 v11, vcc_lo, s8, v9
	v_add_co_ci_u32_e64 v12, null, s9, v10, vcc_lo
	v_add_co_u32 v9, vcc_lo, s10, v9
	v_add_co_ci_u32_e64 v10, null, s11, v10, vcc_lo
	global_load_dword v11, v[11:12], off
	global_load_dword v10, v[9:10], off
	v_mov_b32_e32 v12, 0
	s_waitcnt vmcnt(1)
	v_subrev_nc_u32_e32 v9, s4, v11
	s_waitcnt vmcnt(0)
	v_sub_nc_u32_e32 v19, v10, v11
	v_mov_b32_e32 v10, v2
	s_and_saveexec_b32 s2, s0
	s_cbranch_execz .LBB32_16
; %bb.9:                                ;   in Loop: Header=BB32_8 Depth=2
	v_ashrrev_i32_e32 v10, 31, v9
	v_mov_b32_e32 v12, 0
	v_mov_b32_e32 v2, 0
	s_mov_b32 s44, 0
                                        ; implicit-def: $sgpr45
	v_lshlrev_b64 v[20:21], 2, v[9:10]
	v_lshlrev_b64 v[10:11], 3, v[9:10]
	v_add_co_u32 v20, vcc_lo, s12, v20
	v_add_co_ci_u32_e64 v22, null, s13, v21, vcc_lo
	v_add_co_u32 v23, vcc_lo, s14, v10
	v_add_co_ci_u32_e64 v24, null, s15, v11, vcc_lo
	v_mov_b32_e32 v10, 0
	v_mov_b32_e32 v21, 0
	s_branch .LBB32_12
.LBB32_10:                              ;   in Loop: Header=BB32_12 Depth=3
	s_or_b32 exec_lo, exec_lo, s1
	v_cmp_le_i32_e32 vcc_lo, v25, v26
	v_cmp_ge_i32_e64 s1, v25, v26
	v_add_co_ci_u32_e64 v2, null, 0, v2, vcc_lo
	v_add_co_ci_u32_e64 v10, null, 0, v10, s1
	s_andn2_b32 s1, s45, exec_lo
	v_cmp_ge_i32_e32 vcc_lo, v2, v14
	s_and_b32 s45, vcc_lo, exec_lo
	s_or_b32 s45, s1, s45
.LBB32_11:                              ;   in Loop: Header=BB32_12 Depth=3
	s_or_b32 exec_lo, exec_lo, s46
	s_and_b32 s1, exec_lo, s45
	s_or_b32 s44, s1, s44
	s_andn2_b32 exec_lo, exec_lo, s44
	s_cbranch_execz .LBB32_15
.LBB32_12:                              ;   Parent Loop BB32_4 Depth=1
                                        ;     Parent Loop BB32_8 Depth=2
                                        ; =>    This Inner Loop Header: Depth=3
	s_or_b32 s45, s45, exec_lo
	s_mov_b32 s46, exec_lo
	v_cmpx_lt_i32_e64 v10, v19
	s_cbranch_execz .LBB32_11
; %bb.13:                               ;   in Loop: Header=BB32_12 Depth=3
	v_mov_b32_e32 v11, v3
	v_lshlrev_b64 v[25:26], 2, v[2:3]
	s_mov_b32 s1, exec_lo
	v_lshlrev_b64 v[27:28], 2, v[10:11]
	v_add_co_u32 v25, vcc_lo, v15, v25
	v_add_co_ci_u32_e64 v26, null, v16, v26, vcc_lo
	v_add_co_u32 v27, vcc_lo, v20, v27
	v_add_co_ci_u32_e64 v28, null, v22, v28, vcc_lo
	global_load_dword v25, v[25:26], off
	global_load_dword v26, v[27:28], off
	s_waitcnt vmcnt(1)
	v_subrev_nc_u32_e32 v25, s41, v25
	s_waitcnt vmcnt(0)
	v_subrev_nc_u32_e32 v26, s4, v26
	v_cmpx_eq_u32_e64 v25, v26
	s_cbranch_execz .LBB32_10
; %bb.14:                               ;   in Loop: Header=BB32_12 Depth=3
	v_lshlrev_b64 v[27:28], 3, v[2:3]
	v_lshlrev_b64 v[29:30], 3, v[10:11]
	v_add_co_u32 v27, vcc_lo, v17, v27
	v_add_co_ci_u32_e64 v28, null, v18, v28, vcc_lo
	v_add_co_u32 v29, vcc_lo, v23, v29
	v_add_co_ci_u32_e64 v30, null, v24, v30, vcc_lo
	global_load_dwordx2 v[27:28], v[27:28], off
	global_load_dwordx2 v[29:30], v[29:30], off
	s_waitcnt vmcnt(0)
	v_fmac_f32_e32 v12, v27, v29
	v_fmac_f32_e32 v21, v28, v29
	v_fma_f32 v12, -v28, v30, v12
	v_fmac_f32_e32 v21, v27, v30
	s_branch .LBB32_10
.LBB32_15:                              ;   in Loop: Header=BB32_8 Depth=2
	s_or_b32 exec_lo, exec_lo, s44
.LBB32_16:                              ;   in Loop: Header=BB32_8 Depth=2
	s_or_b32 exec_lo, exec_lo, s2
	v_lshlrev_b64 v[22:23], 3, v[4:5]
	v_cmp_le_i32_e64 s1, v1, v7
	s_mov_b32 s2, exec_lo
	v_add_co_u32 v22, vcc_lo, s30, v22
	v_add_co_ci_u32_e64 v23, null, s31, v23, vcc_lo
	global_load_dwordx2 v[22:23], v[22:23], off
	s_waitcnt vmcnt(0)
	v_sub_f32_e32 v20, v22, v12
	v_sub_f32_e32 v5, v23, v21
	v_cmpx_gt_i32_e64 v1, v7
	s_cbranch_execz .LBB32_18
; %bb.17:                               ;   in Loop: Header=BB32_8 Depth=2
	v_lshlrev_b64 v[11:12], 3, v[7:8]
	v_add_co_u32 v11, vcc_lo, s36, v11
	v_add_co_ci_u32_e64 v12, null, s37, v12, vcc_lo
	global_load_dwordx2 v[11:12], v[11:12], off
	s_waitcnt vmcnt(0)
	v_mul_f32_e32 v21, v12, v12
	v_fmac_f32_e32 v21, v11, v11
	v_div_scale_f32 v22, null, v21, v21, 1.0
	v_div_scale_f32 v25, vcc_lo, 1.0, v21, 1.0
	v_rcp_f32_e32 v23, v22
	v_fma_f32 v24, -v22, v23, 1.0
	v_fmac_f32_e32 v23, v24, v23
	v_mul_f32_e32 v24, v25, v23
	v_fma_f32 v26, -v22, v24, v25
	v_fmac_f32_e32 v24, v26, v23
	v_fma_f32 v22, -v22, v24, v25
	v_div_fmas_f32 v22, v22, v23, v24
	v_mul_f32_e32 v23, v5, v12
	v_mul_f32_e64 v12, v12, -v20
	v_div_fixup_f32 v21, v22, v21, 1.0
	v_fmac_f32_e32 v23, v20, v11
	v_fmac_f32_e32 v12, v5, v11
	v_mul_f32_e32 v20, v23, v21
	v_mul_f32_e32 v5, v12, v21
.LBB32_18:                              ;   in Loop: Header=BB32_8 Depth=2
	s_or_b32 exec_lo, exec_lo, s2
	v_cmp_gt_f32_e32 vcc_lo, 0, v20
                                        ; implicit-def: $vgpr21
	s_mov_b32 s2, exec_lo
	v_cndmask_b32_e64 v11, v20, -v20, vcc_lo
	v_cmp_gt_f32_e32 vcc_lo, 0, v5
	v_cndmask_b32_e64 v12, v5, -v5, vcc_lo
	v_cmpx_ngt_f32_e32 v11, v12
	s_xor_b32 s44, exec_lo, s2
	s_cbranch_execnz .LBB32_21
; %bb.19:                               ;   in Loop: Header=BB32_8 Depth=2
	s_andn2_saveexec_b32 s44, s44
	s_cbranch_execnz .LBB32_24
.LBB32_20:                              ;   in Loop: Header=BB32_8 Depth=2
	s_or_b32 exec_lo, exec_lo, s44
	v_cmp_class_f32_e64 s44, v21, 0x1f8
	s_and_saveexec_b32 s2, s44
	s_cbranch_execz .LBB32_7
	s_branch .LBB32_25
.LBB32_21:                              ;   in Loop: Header=BB32_8 Depth=2
	v_mov_b32_e32 v21, 0
	s_mov_b32 s45, exec_lo
	v_cmpx_neq_f32_e32 0, v5
	s_cbranch_execz .LBB32_23
; %bb.22:                               ;   in Loop: Header=BB32_8 Depth=2
	v_div_scale_f32 v21, null, v12, v12, v11
	v_div_scale_f32 v24, vcc_lo, v11, v12, v11
	v_rcp_f32_e32 v22, v21
	v_fma_f32 v23, -v21, v22, 1.0
	v_fmac_f32_e32 v22, v23, v22
	v_mul_f32_e32 v23, v24, v22
	v_fma_f32 v25, -v21, v23, v24
	v_fmac_f32_e32 v23, v25, v22
	v_fma_f32 v21, -v21, v23, v24
	v_div_fmas_f32 v21, v21, v22, v23
	v_div_fixup_f32 v11, v21, v12, v11
	v_fma_f32 v11, v11, v11, 1.0
	v_mul_f32_e32 v21, 0x4f800000, v11
	v_cmp_gt_f32_e32 vcc_lo, 0xf800000, v11
	v_cndmask_b32_e32 v11, v11, v21, vcc_lo
	v_sqrt_f32_e32 v21, v11
	v_add_nc_u32_e32 v22, -1, v21
	v_add_nc_u32_e32 v23, 1, v21
	v_fma_f32 v24, -v22, v21, v11
	v_fma_f32 v25, -v23, v21, v11
	v_cmp_ge_f32_e64 s2, 0, v24
	v_cndmask_b32_e64 v21, v21, v22, s2
	v_cmp_lt_f32_e64 s2, 0, v25
	v_cndmask_b32_e64 v21, v21, v23, s2
	v_mul_f32_e32 v22, 0x37800000, v21
	v_cndmask_b32_e32 v21, v21, v22, vcc_lo
	v_cmp_class_f32_e64 vcc_lo, v11, 0x260
	v_cndmask_b32_e32 v11, v21, v11, vcc_lo
	v_mul_f32_e32 v21, v12, v11
.LBB32_23:                              ;   in Loop: Header=BB32_8 Depth=2
	s_or_b32 exec_lo, exec_lo, s45
                                        ; implicit-def: $vgpr11
                                        ; implicit-def: $vgpr12
	s_andn2_saveexec_b32 s44, s44
	s_cbranch_execz .LBB32_20
.LBB32_24:                              ;   in Loop: Header=BB32_8 Depth=2
	v_div_scale_f32 v21, null, v11, v11, v12
	v_div_scale_f32 v24, vcc_lo, v12, v11, v12
	v_rcp_f32_e32 v22, v21
	v_fma_f32 v23, -v21, v22, 1.0
	v_fmac_f32_e32 v22, v23, v22
	v_mul_f32_e32 v23, v24, v22
	v_fma_f32 v25, -v21, v23, v24
	v_fmac_f32_e32 v23, v25, v22
	v_fma_f32 v21, -v21, v23, v24
	v_div_fmas_f32 v21, v21, v22, v23
	v_div_fixup_f32 v12, v21, v11, v12
	v_fma_f32 v12, v12, v12, 1.0
	v_mul_f32_e32 v21, 0x4f800000, v12
	v_cmp_gt_f32_e32 vcc_lo, 0xf800000, v12
	v_cndmask_b32_e32 v12, v12, v21, vcc_lo
	v_sqrt_f32_e32 v21, v12
	v_add_nc_u32_e32 v22, -1, v21
	v_add_nc_u32_e32 v23, 1, v21
	v_fma_f32 v24, -v22, v21, v12
	v_fma_f32 v25, -v23, v21, v12
	v_cmp_ge_f32_e64 s2, 0, v24
	v_cndmask_b32_e64 v21, v21, v22, s2
	v_cmp_lt_f32_e64 s2, 0, v25
	v_cndmask_b32_e64 v21, v21, v23, s2
	v_mul_f32_e32 v22, 0x37800000, v21
	v_cndmask_b32_e32 v21, v21, v22, vcc_lo
	v_cmp_class_f32_e64 vcc_lo, v12, 0x260
	v_cndmask_b32_e32 v12, v21, v12, vcc_lo
	v_mul_f32_e32 v21, v11, v12
	s_or_b32 exec_lo, exec_lo, s44
	v_cmp_class_f32_e64 s44, v21, 0x1f8
	s_and_saveexec_b32 s2, s44
	s_cbranch_execz .LBB32_7
.LBB32_25:                              ;   in Loop: Header=BB32_8 Depth=2
	s_mov_b32 s44, 0
                                        ; implicit-def: $vgpr11_vgpr12
	s_and_saveexec_b32 s45, s1
	s_xor_b32 s1, exec_lo, s45
	s_cbranch_execnz .LBB32_28
; %bb.26:                               ;   in Loop: Header=BB32_8 Depth=2
	s_andn2_saveexec_b32 s1, s1
	s_cbranch_execnz .LBB32_41
.LBB32_27:                              ;   in Loop: Header=BB32_8 Depth=2
	s_or_b32 exec_lo, exec_lo, s1
	s_and_b32 exec_lo, exec_lo, s44
	s_cbranch_execz .LBB32_7
	s_branch .LBB32_50
.LBB32_28:                              ;   in Loop: Header=BB32_8 Depth=2
	s_mov_b32 s45, exec_lo
                                        ; implicit-def: $vgpr11_vgpr12
	v_cmpx_ge_i32_e64 v1, v7
	s_xor_b32 s45, exec_lo, s45
	s_cbranch_execz .LBB32_30
; %bb.29:                               ;   in Loop: Header=BB32_8 Depth=2
	v_lshlrev_b64 v[7:8], 3, v[7:8]
	s_mov_b32 s44, exec_lo
                                        ; implicit-def: $vgpr10
                                        ; implicit-def: $vgpr19
                                        ; implicit-def: $vgpr9
	v_add_co_u32 v11, vcc_lo, s38, v7
	v_add_co_ci_u32_e64 v12, null, s39, v8, vcc_lo
	global_store_dword v[11:12], v20, off
                                        ; implicit-def: $vgpr20
.LBB32_30:                              ;   in Loop: Header=BB32_8 Depth=2
	s_andn2_saveexec_b32 s45, s45
	s_cbranch_execz .LBB32_40
; %bb.31:                               ;   in Loop: Header=BB32_8 Depth=2
	s_mov_b32 s47, s44
	s_mov_b32 s46, exec_lo
                                        ; implicit-def: $vgpr11_vgpr12
	v_cmpx_lt_i32_e64 v10, v19
	s_cbranch_execz .LBB32_39
; %bb.32:                               ;   in Loop: Header=BB32_8 Depth=2
	s_mov_b32 s48, 0
                                        ; implicit-def: $sgpr47
                                        ; implicit-def: $sgpr50
                                        ; implicit-def: $sgpr49
	s_inst_prefetch 0x1
	s_branch .LBB32_34
	.p2align	6
.LBB32_33:                              ;   in Loop: Header=BB32_34 Depth=3
	s_or_b32 exec_lo, exec_lo, s51
	s_and_b32 s51, exec_lo, s50
	s_or_b32 s48, s51, s48
	s_andn2_b32 s47, s47, exec_lo
	s_and_b32 s51, s49, exec_lo
	s_or_b32 s47, s47, s51
	s_andn2_b32 exec_lo, exec_lo, s48
	s_cbranch_execz .LBB32_36
.LBB32_34:                              ;   Parent Loop BB32_4 Depth=1
                                        ;     Parent Loop BB32_8 Depth=2
                                        ; =>    This Inner Loop Header: Depth=3
	v_add_nc_u32_e32 v7, v9, v10
	s_or_b32 s49, s49, exec_lo
	s_or_b32 s50, s50, exec_lo
	s_mov_b32 s51, exec_lo
	v_ashrrev_i32_e32 v8, 31, v7
	v_lshlrev_b64 v[11:12], 2, v[7:8]
	v_add_co_u32 v11, vcc_lo, s12, v11
	v_add_co_ci_u32_e64 v12, null, s13, v12, vcc_lo
	global_load_dword v2, v[11:12], off
	s_waitcnt vmcnt(0)
	v_subrev_nc_u32_e32 v2, s4, v2
	v_cmpx_ne_u32_e64 v2, v1
	s_cbranch_execz .LBB32_33
; %bb.35:                               ;   in Loop: Header=BB32_34 Depth=3
	v_add_nc_u32_e32 v10, 1, v10
	s_andn2_b32 s50, s50, exec_lo
	s_andn2_b32 s49, s49, exec_lo
	v_cmp_ge_i32_e32 vcc_lo, v10, v19
	s_and_b32 s52, vcc_lo, exec_lo
	s_or_b32 s50, s50, s52
	s_branch .LBB32_33
.LBB32_36:                              ;   in Loop: Header=BB32_8 Depth=2
	s_inst_prefetch 0x2
	s_or_b32 exec_lo, exec_lo, s48
	s_mov_b32 s48, s44
                                        ; implicit-def: $vgpr11_vgpr12
	s_and_saveexec_b32 s49, s47
	s_xor_b32 s47, exec_lo, s49
	s_cbranch_execz .LBB32_38
; %bb.37:                               ;   in Loop: Header=BB32_8 Depth=2
	v_lshlrev_b64 v[7:8], 3, v[7:8]
	s_or_b32 s48, s44, exec_lo
	v_add_co_u32 v11, vcc_lo, s34, v7
	v_add_co_ci_u32_e64 v12, null, s35, v8, vcc_lo
	global_store_dword v[11:12], v20, off
.LBB32_38:                              ;   in Loop: Header=BB32_8 Depth=2
	s_or_b32 exec_lo, exec_lo, s47
	s_andn2_b32 s47, s44, exec_lo
	s_and_b32 s48, s48, exec_lo
	s_or_b32 s47, s47, s48
.LBB32_39:                              ;   in Loop: Header=BB32_8 Depth=2
	s_or_b32 exec_lo, exec_lo, s46
	s_andn2_b32 s44, s44, exec_lo
	s_and_b32 s46, s47, exec_lo
	s_or_b32 s44, s44, s46
.LBB32_40:                              ;   in Loop: Header=BB32_8 Depth=2
	s_or_b32 exec_lo, exec_lo, s45
	s_and_b32 s44, s44, exec_lo
                                        ; implicit-def: $vgpr20
                                        ; implicit-def: $vgpr7_vgpr8
	s_andn2_saveexec_b32 s1, s1
	s_cbranch_execz .LBB32_27
.LBB32_41:                              ;   in Loop: Header=BB32_8 Depth=2
	s_mov_b32 s46, s44
	s_mov_b32 s45, exec_lo
                                        ; implicit-def: $vgpr11_vgpr12
	v_cmpx_lt_i32_e64 v2, v14
	s_cbranch_execz .LBB32_49
; %bb.42:                               ;   in Loop: Header=BB32_8 Depth=2
	s_mov_b32 s47, 0
                                        ; implicit-def: $sgpr46
                                        ; implicit-def: $sgpr49
                                        ; implicit-def: $sgpr48
	s_inst_prefetch 0x1
	s_branch .LBB32_44
	.p2align	6
.LBB32_43:                              ;   in Loop: Header=BB32_44 Depth=3
	s_or_b32 exec_lo, exec_lo, s50
	s_and_b32 s50, exec_lo, s49
	s_or_b32 s47, s50, s47
	s_andn2_b32 s46, s46, exec_lo
	s_and_b32 s50, s48, exec_lo
	s_or_b32 s46, s46, s50
	s_andn2_b32 exec_lo, exec_lo, s47
	s_cbranch_execz .LBB32_46
.LBB32_44:                              ;   Parent Loop BB32_4 Depth=1
                                        ;     Parent Loop BB32_8 Depth=2
                                        ; =>    This Inner Loop Header: Depth=3
	v_add_nc_u32_e32 v8, v6, v2
	s_or_b32 s48, s48, exec_lo
	s_or_b32 s49, s49, exec_lo
	s_mov_b32 s50, exec_lo
	v_ashrrev_i32_e32 v9, 31, v8
	v_lshlrev_b64 v[10:11], 2, v[8:9]
	v_add_co_u32 v10, vcc_lo, s20, v10
	v_add_co_ci_u32_e64 v11, null, s21, v11, vcc_lo
	global_load_dword v10, v[10:11], off
	s_waitcnt vmcnt(0)
	v_subrev_nc_u32_e32 v10, s41, v10
	v_cmpx_ne_u32_e64 v10, v7
	s_cbranch_execz .LBB32_43
; %bb.45:                               ;   in Loop: Header=BB32_44 Depth=3
	v_add_nc_u32_e32 v2, 1, v2
	s_andn2_b32 s49, s49, exec_lo
	s_andn2_b32 s48, s48, exec_lo
	v_cmp_ge_i32_e32 vcc_lo, v2, v14
	s_and_b32 s51, vcc_lo, exec_lo
	s_or_b32 s49, s49, s51
	s_branch .LBB32_43
.LBB32_46:                              ;   in Loop: Header=BB32_8 Depth=2
	s_inst_prefetch 0x2
	s_or_b32 exec_lo, exec_lo, s47
	s_mov_b32 s47, s44
                                        ; implicit-def: $vgpr11_vgpr12
	s_and_saveexec_b32 s48, s46
	s_xor_b32 s46, exec_lo, s48
	s_cbranch_execz .LBB32_48
; %bb.47:                               ;   in Loop: Header=BB32_8 Depth=2
	v_lshlrev_b64 v[7:8], 3, v[8:9]
	s_or_b32 s47, s44, exec_lo
	v_add_co_u32 v11, vcc_lo, s6, v7
	v_add_co_ci_u32_e64 v12, null, s7, v8, vcc_lo
	global_store_dword v[11:12], v20, off
.LBB32_48:                              ;   in Loop: Header=BB32_8 Depth=2
	s_or_b32 exec_lo, exec_lo, s46
	s_andn2_b32 s46, s44, exec_lo
	s_and_b32 s47, s47, exec_lo
	s_or_b32 s46, s46, s47
.LBB32_49:                              ;   in Loop: Header=BB32_8 Depth=2
	s_or_b32 exec_lo, exec_lo, s45
	s_andn2_b32 s44, s44, exec_lo
	s_and_b32 s45, s46, exec_lo
	s_or_b32 s44, s44, s45
	s_or_b32 exec_lo, exec_lo, s1
	s_and_b32 exec_lo, exec_lo, s44
	s_cbranch_execz .LBB32_7
.LBB32_50:                              ;   in Loop: Header=BB32_8 Depth=2
	global_store_dword v[11:12], v5, off offset:4
	s_branch .LBB32_7
.LBB32_51:
	s_endpgm
	.section	.rodata,"a",@progbits
	.p2align	6, 0x0
	.amdhsa_kernel _ZN9rocsparseL17kernel_correctionILi1024ELi16E21rocsparse_complex_numIfEiiEEvT3_T2_PKS4_S6_PKS3_PKT1_21rocsparse_index_base_S6_S6_S8_SB_PS9_SC_S6_S6_S8_SB_SD_SC_SB_SD_
		.amdhsa_group_segment_fixed_size 0
		.amdhsa_private_segment_fixed_size 0
		.amdhsa_kernarg_size 160
		.amdhsa_user_sgpr_count 6
		.amdhsa_user_sgpr_private_segment_buffer 1
		.amdhsa_user_sgpr_dispatch_ptr 0
		.amdhsa_user_sgpr_queue_ptr 0
		.amdhsa_user_sgpr_kernarg_segment_ptr 1
		.amdhsa_user_sgpr_dispatch_id 0
		.amdhsa_user_sgpr_flat_scratch_init 0
		.amdhsa_user_sgpr_private_segment_size 0
		.amdhsa_wavefront_size32 1
		.amdhsa_uses_dynamic_stack 0
		.amdhsa_system_sgpr_private_segment_wavefront_offset 0
		.amdhsa_system_sgpr_workgroup_id_x 1
		.amdhsa_system_sgpr_workgroup_id_y 0
		.amdhsa_system_sgpr_workgroup_id_z 0
		.amdhsa_system_sgpr_workgroup_info 0
		.amdhsa_system_vgpr_workitem_id 0
		.amdhsa_next_free_vgpr 31
		.amdhsa_next_free_sgpr 53
		.amdhsa_reserve_vcc 1
		.amdhsa_reserve_flat_scratch 0
		.amdhsa_float_round_mode_32 0
		.amdhsa_float_round_mode_16_64 0
		.amdhsa_float_denorm_mode_32 3
		.amdhsa_float_denorm_mode_16_64 3
		.amdhsa_dx10_clamp 1
		.amdhsa_ieee_mode 1
		.amdhsa_fp16_overflow 0
		.amdhsa_workgroup_processor_mode 1
		.amdhsa_memory_ordered 1
		.amdhsa_forward_progress 1
		.amdhsa_shared_vgpr_count 0
		.amdhsa_exception_fp_ieee_invalid_op 0
		.amdhsa_exception_fp_denorm_src 0
		.amdhsa_exception_fp_ieee_div_zero 0
		.amdhsa_exception_fp_ieee_overflow 0
		.amdhsa_exception_fp_ieee_underflow 0
		.amdhsa_exception_fp_ieee_inexact 0
		.amdhsa_exception_int_div_zero 0
	.end_amdhsa_kernel
	.section	.text._ZN9rocsparseL17kernel_correctionILi1024ELi16E21rocsparse_complex_numIfEiiEEvT3_T2_PKS4_S6_PKS3_PKT1_21rocsparse_index_base_S6_S6_S8_SB_PS9_SC_S6_S6_S8_SB_SD_SC_SB_SD_,"axG",@progbits,_ZN9rocsparseL17kernel_correctionILi1024ELi16E21rocsparse_complex_numIfEiiEEvT3_T2_PKS4_S6_PKS3_PKT1_21rocsparse_index_base_S6_S6_S8_SB_PS9_SC_S6_S6_S8_SB_SD_SC_SB_SD_,comdat
.Lfunc_end32:
	.size	_ZN9rocsparseL17kernel_correctionILi1024ELi16E21rocsparse_complex_numIfEiiEEvT3_T2_PKS4_S6_PKS3_PKT1_21rocsparse_index_base_S6_S6_S8_SB_PS9_SC_S6_S6_S8_SB_SD_SC_SB_SD_, .Lfunc_end32-_ZN9rocsparseL17kernel_correctionILi1024ELi16E21rocsparse_complex_numIfEiiEEvT3_T2_PKS4_S6_PKS3_PKT1_21rocsparse_index_base_S6_S6_S8_SB_PS9_SC_S6_S6_S8_SB_SD_SC_SB_SD_
                                        ; -- End function
	.set _ZN9rocsparseL17kernel_correctionILi1024ELi16E21rocsparse_complex_numIfEiiEEvT3_T2_PKS4_S6_PKS3_PKT1_21rocsparse_index_base_S6_S6_S8_SB_PS9_SC_S6_S6_S8_SB_SD_SC_SB_SD_.num_vgpr, 31
	.set _ZN9rocsparseL17kernel_correctionILi1024ELi16E21rocsparse_complex_numIfEiiEEvT3_T2_PKS4_S6_PKS3_PKT1_21rocsparse_index_base_S6_S6_S8_SB_PS9_SC_S6_S6_S8_SB_SD_SC_SB_SD_.num_agpr, 0
	.set _ZN9rocsparseL17kernel_correctionILi1024ELi16E21rocsparse_complex_numIfEiiEEvT3_T2_PKS4_S6_PKS3_PKT1_21rocsparse_index_base_S6_S6_S8_SB_PS9_SC_S6_S6_S8_SB_SD_SC_SB_SD_.numbered_sgpr, 53
	.set _ZN9rocsparseL17kernel_correctionILi1024ELi16E21rocsparse_complex_numIfEiiEEvT3_T2_PKS4_S6_PKS3_PKT1_21rocsparse_index_base_S6_S6_S8_SB_PS9_SC_S6_S6_S8_SB_SD_SC_SB_SD_.num_named_barrier, 0
	.set _ZN9rocsparseL17kernel_correctionILi1024ELi16E21rocsparse_complex_numIfEiiEEvT3_T2_PKS4_S6_PKS3_PKT1_21rocsparse_index_base_S6_S6_S8_SB_PS9_SC_S6_S6_S8_SB_SD_SC_SB_SD_.private_seg_size, 0
	.set _ZN9rocsparseL17kernel_correctionILi1024ELi16E21rocsparse_complex_numIfEiiEEvT3_T2_PKS4_S6_PKS3_PKT1_21rocsparse_index_base_S6_S6_S8_SB_PS9_SC_S6_S6_S8_SB_SD_SC_SB_SD_.uses_vcc, 1
	.set _ZN9rocsparseL17kernel_correctionILi1024ELi16E21rocsparse_complex_numIfEiiEEvT3_T2_PKS4_S6_PKS3_PKT1_21rocsparse_index_base_S6_S6_S8_SB_PS9_SC_S6_S6_S8_SB_SD_SC_SB_SD_.uses_flat_scratch, 0
	.set _ZN9rocsparseL17kernel_correctionILi1024ELi16E21rocsparse_complex_numIfEiiEEvT3_T2_PKS4_S6_PKS3_PKT1_21rocsparse_index_base_S6_S6_S8_SB_PS9_SC_S6_S6_S8_SB_SD_SC_SB_SD_.has_dyn_sized_stack, 0
	.set _ZN9rocsparseL17kernel_correctionILi1024ELi16E21rocsparse_complex_numIfEiiEEvT3_T2_PKS4_S6_PKS3_PKT1_21rocsparse_index_base_S6_S6_S8_SB_PS9_SC_S6_S6_S8_SB_SD_SC_SB_SD_.has_recursion, 0
	.set _ZN9rocsparseL17kernel_correctionILi1024ELi16E21rocsparse_complex_numIfEiiEEvT3_T2_PKS4_S6_PKS3_PKT1_21rocsparse_index_base_S6_S6_S8_SB_PS9_SC_S6_S6_S8_SB_SD_SC_SB_SD_.has_indirect_call, 0
	.section	.AMDGPU.csdata,"",@progbits
; Kernel info:
; codeLenInByte = 2428
; TotalNumSgprs: 55
; NumVgprs: 31
; ScratchSize: 0
; MemoryBound: 0
; FloatMode: 240
; IeeeMode: 1
; LDSByteSize: 0 bytes/workgroup (compile time only)
; SGPRBlocks: 0
; VGPRBlocks: 3
; NumSGPRsForWavesPerEU: 55
; NumVGPRsForWavesPerEU: 31
; Occupancy: 16
; WaveLimiterHint : 1
; COMPUTE_PGM_RSRC2:SCRATCH_EN: 0
; COMPUTE_PGM_RSRC2:USER_SGPR: 6
; COMPUTE_PGM_RSRC2:TRAP_HANDLER: 0
; COMPUTE_PGM_RSRC2:TGID_X_EN: 1
; COMPUTE_PGM_RSRC2:TGID_Y_EN: 0
; COMPUTE_PGM_RSRC2:TGID_Z_EN: 0
; COMPUTE_PGM_RSRC2:TIDIG_COMP_CNT: 0
	.section	.text._ZN9rocsparseL17kernel_correctionILi1024ELi32E21rocsparse_complex_numIfEiiEEvT3_T2_PKS4_S6_PKS3_PKT1_21rocsparse_index_base_S6_S6_S8_SB_PS9_SC_S6_S6_S8_SB_SD_SC_SB_SD_,"axG",@progbits,_ZN9rocsparseL17kernel_correctionILi1024ELi32E21rocsparse_complex_numIfEiiEEvT3_T2_PKS4_S6_PKS3_PKT1_21rocsparse_index_base_S6_S6_S8_SB_PS9_SC_S6_S6_S8_SB_SD_SC_SB_SD_,comdat
	.globl	_ZN9rocsparseL17kernel_correctionILi1024ELi32E21rocsparse_complex_numIfEiiEEvT3_T2_PKS4_S6_PKS3_PKT1_21rocsparse_index_base_S6_S6_S8_SB_PS9_SC_S6_S6_S8_SB_SD_SC_SB_SD_ ; -- Begin function _ZN9rocsparseL17kernel_correctionILi1024ELi32E21rocsparse_complex_numIfEiiEEvT3_T2_PKS4_S6_PKS3_PKT1_21rocsparse_index_base_S6_S6_S8_SB_PS9_SC_S6_S6_S8_SB_SD_SC_SB_SD_
	.p2align	8
	.type	_ZN9rocsparseL17kernel_correctionILi1024ELi32E21rocsparse_complex_numIfEiiEEvT3_T2_PKS4_S6_PKS3_PKT1_21rocsparse_index_base_S6_S6_S8_SB_PS9_SC_S6_S6_S8_SB_SD_SC_SB_SD_,@function
_ZN9rocsparseL17kernel_correctionILi1024ELi32E21rocsparse_complex_numIfEiiEEvT3_T2_PKS4_S6_PKS3_PKT1_21rocsparse_index_base_S6_S6_S8_SB_PS9_SC_S6_S6_S8_SB_SD_SC_SB_SD_: ; @_ZN9rocsparseL17kernel_correctionILi1024ELi32E21rocsparse_complex_numIfEiiEEvT3_T2_PKS4_S6_PKS3_PKT1_21rocsparse_index_base_S6_S6_S8_SB_PS9_SC_S6_S6_S8_SB_SD_SC_SB_SD_
; %bb.0:
	s_load_dword s3, s[4:5], 0x0
	v_lshrrev_b32_e32 v1, 5, v0
	s_lshl_b32 s33, s6, 10
	s_mov_b32 s0, exec_lo
	v_or_b32_e32 v1, s33, v1
	s_waitcnt lgkmcnt(0)
	v_cmpx_gt_i32_e64 s3, v1
	s_cbranch_execz .LBB33_51
; %bb.1:
	s_addk_i32 s33, 0x400
	v_cmp_gt_u32_e32 vcc_lo, s33, v1
	s_and_b32 exec_lo, exec_lo, vcc_lo
	s_cbranch_execz .LBB33_51
; %bb.2:
	s_clause 0x8
	s_load_dwordx4 s[36:39], s[4:5], 0x90
	s_load_dwordx8 s[8:15], s[4:5], 0x60
	s_load_dword s40, s[4:5], 0x28
	s_load_dwordx8 s[16:23], s[4:5], 0x30
	s_load_dwordx8 s[24:31], s[4:5], 0x8
	s_load_dwordx2 s[6:7], s[4:5], 0x50
	s_load_dword s41, s[4:5], 0x58
	s_load_dwordx2 s[34:35], s[4:5], 0x80
	s_load_dword s4, s[4:5], 0x88
	v_and_b32_e32 v0, 31, v0
	v_mov_b32_e32 v3, 0
	s_mov_b32 s5, 0
	s_waitcnt lgkmcnt(0)
	v_subrev_nc_u32_e32 v0, s40, v0
	s_branch .LBB33_4
.LBB33_3:                               ;   in Loop: Header=BB33_4 Depth=1
	s_or_b32 exec_lo, exec_lo, s42
	v_add_nc_u32_e32 v1, 32, v1
	v_cmp_le_u32_e32 vcc_lo, s33, v1
	s_or_b32 s5, vcc_lo, s5
	s_andn2_b32 exec_lo, exec_lo, s5
	s_cbranch_execz .LBB33_51
.LBB33_4:                               ; =>This Loop Header: Depth=1
                                        ;     Child Loop BB33_8 Depth 2
                                        ;       Child Loop BB33_12 Depth 3
                                        ;       Child Loop BB33_34 Depth 3
	;; [unrolled: 1-line block ×3, first 2 shown]
	s_mov_b32 s42, exec_lo
	v_cmpx_gt_i32_e64 s3, v1
	s_cbranch_execz .LBB33_3
; %bb.5:                                ;   in Loop: Header=BB33_4 Depth=1
	v_ashrrev_i32_e32 v2, 31, v1
	v_lshlrev_b64 v[5:6], 2, v[1:2]
	v_add_co_u32 v7, vcc_lo, s24, v5
	v_add_co_ci_u32_e64 v8, null, s25, v6, vcc_lo
	v_add_co_u32 v9, vcc_lo, s26, v5
	v_add_co_ci_u32_e64 v10, null, s27, v6, vcc_lo
	global_load_dword v2, v[7:8], off
	global_load_dword v7, v[9:10], off
	s_waitcnt vmcnt(1)
	v_add_nc_u32_e32 v4, v0, v2
	s_waitcnt vmcnt(0)
	v_subrev_nc_u32_e32 v13, s40, v7
	v_cmp_lt_i32_e32 vcc_lo, v4, v13
	s_and_b32 exec_lo, exec_lo, vcc_lo
	s_cbranch_execz .LBB33_3
; %bb.6:                                ;   in Loop: Header=BB33_4 Depth=1
	v_add_co_u32 v7, vcc_lo, s16, v5
	v_add_co_ci_u32_e64 v8, null, s17, v6, vcc_lo
	v_add_co_u32 v5, vcc_lo, s18, v5
	v_add_co_ci_u32_e64 v6, null, s19, v6, vcc_lo
	global_load_dword v2, v[7:8], off
	s_mov_b32 s43, 0
	global_load_dword v5, v[5:6], off
	s_waitcnt vmcnt(1)
	v_subrev_nc_u32_e32 v6, s41, v2
	s_waitcnt vmcnt(0)
	v_sub_nc_u32_e32 v14, v5, v2
	v_ashrrev_i32_e32 v7, 31, v6
	v_cmp_lt_i32_e64 s0, 0, v14
	v_lshlrev_b64 v[8:9], 2, v[6:7]
	v_lshlrev_b64 v[10:11], 3, v[6:7]
	v_add_co_u32 v15, vcc_lo, s20, v8
	v_add_co_ci_u32_e64 v16, null, s21, v9, vcc_lo
	v_add_co_u32 v17, vcc_lo, s22, v10
	v_add_co_ci_u32_e64 v18, null, s23, v11, vcc_lo
	s_branch .LBB33_8
.LBB33_7:                               ;   in Loop: Header=BB33_8 Depth=2
	s_or_b32 exec_lo, exec_lo, s2
	v_add_nc_u32_e32 v4, 32, v4
	v_cmp_ge_i32_e32 vcc_lo, v4, v13
	s_or_b32 s43, vcc_lo, s43
	s_andn2_b32 exec_lo, exec_lo, s43
	s_cbranch_execz .LBB33_3
.LBB33_8:                               ;   Parent Loop BB33_4 Depth=1
                                        ; =>  This Loop Header: Depth=2
                                        ;       Child Loop BB33_12 Depth 3
                                        ;       Child Loop BB33_34 Depth 3
	;; [unrolled: 1-line block ×3, first 2 shown]
	v_ashrrev_i32_e32 v5, 31, v4
	v_mov_b32_e32 v21, 0
	v_lshlrev_b64 v[7:8], 2, v[4:5]
	v_add_co_u32 v7, vcc_lo, s28, v7
	v_add_co_ci_u32_e64 v8, null, s29, v8, vcc_lo
	global_load_dword v2, v[7:8], off
	s_waitcnt vmcnt(0)
	v_subrev_nc_u32_e32 v7, s40, v2
	v_mov_b32_e32 v2, 0
	v_ashrrev_i32_e32 v8, 31, v7
	v_lshlrev_b64 v[9:10], 2, v[7:8]
	v_add_co_u32 v11, vcc_lo, s8, v9
	v_add_co_ci_u32_e64 v12, null, s9, v10, vcc_lo
	v_add_co_u32 v9, vcc_lo, s10, v9
	v_add_co_ci_u32_e64 v10, null, s11, v10, vcc_lo
	global_load_dword v11, v[11:12], off
	global_load_dword v10, v[9:10], off
	v_mov_b32_e32 v12, 0
	s_waitcnt vmcnt(1)
	v_subrev_nc_u32_e32 v9, s4, v11
	s_waitcnt vmcnt(0)
	v_sub_nc_u32_e32 v19, v10, v11
	v_mov_b32_e32 v10, v2
	s_and_saveexec_b32 s2, s0
	s_cbranch_execz .LBB33_16
; %bb.9:                                ;   in Loop: Header=BB33_8 Depth=2
	v_ashrrev_i32_e32 v10, 31, v9
	v_mov_b32_e32 v12, 0
	v_mov_b32_e32 v2, 0
	s_mov_b32 s44, 0
                                        ; implicit-def: $sgpr45
	v_lshlrev_b64 v[20:21], 2, v[9:10]
	v_lshlrev_b64 v[10:11], 3, v[9:10]
	v_add_co_u32 v20, vcc_lo, s12, v20
	v_add_co_ci_u32_e64 v22, null, s13, v21, vcc_lo
	v_add_co_u32 v23, vcc_lo, s14, v10
	v_add_co_ci_u32_e64 v24, null, s15, v11, vcc_lo
	v_mov_b32_e32 v10, 0
	v_mov_b32_e32 v21, 0
	s_branch .LBB33_12
.LBB33_10:                              ;   in Loop: Header=BB33_12 Depth=3
	s_or_b32 exec_lo, exec_lo, s1
	v_cmp_le_i32_e32 vcc_lo, v25, v26
	v_cmp_ge_i32_e64 s1, v25, v26
	v_add_co_ci_u32_e64 v2, null, 0, v2, vcc_lo
	v_add_co_ci_u32_e64 v10, null, 0, v10, s1
	s_andn2_b32 s1, s45, exec_lo
	v_cmp_ge_i32_e32 vcc_lo, v2, v14
	s_and_b32 s45, vcc_lo, exec_lo
	s_or_b32 s45, s1, s45
.LBB33_11:                              ;   in Loop: Header=BB33_12 Depth=3
	s_or_b32 exec_lo, exec_lo, s46
	s_and_b32 s1, exec_lo, s45
	s_or_b32 s44, s1, s44
	s_andn2_b32 exec_lo, exec_lo, s44
	s_cbranch_execz .LBB33_15
.LBB33_12:                              ;   Parent Loop BB33_4 Depth=1
                                        ;     Parent Loop BB33_8 Depth=2
                                        ; =>    This Inner Loop Header: Depth=3
	s_or_b32 s45, s45, exec_lo
	s_mov_b32 s46, exec_lo
	v_cmpx_lt_i32_e64 v10, v19
	s_cbranch_execz .LBB33_11
; %bb.13:                               ;   in Loop: Header=BB33_12 Depth=3
	v_mov_b32_e32 v11, v3
	v_lshlrev_b64 v[25:26], 2, v[2:3]
	s_mov_b32 s1, exec_lo
	v_lshlrev_b64 v[27:28], 2, v[10:11]
	v_add_co_u32 v25, vcc_lo, v15, v25
	v_add_co_ci_u32_e64 v26, null, v16, v26, vcc_lo
	v_add_co_u32 v27, vcc_lo, v20, v27
	v_add_co_ci_u32_e64 v28, null, v22, v28, vcc_lo
	global_load_dword v25, v[25:26], off
	global_load_dword v26, v[27:28], off
	s_waitcnt vmcnt(1)
	v_subrev_nc_u32_e32 v25, s41, v25
	s_waitcnt vmcnt(0)
	v_subrev_nc_u32_e32 v26, s4, v26
	v_cmpx_eq_u32_e64 v25, v26
	s_cbranch_execz .LBB33_10
; %bb.14:                               ;   in Loop: Header=BB33_12 Depth=3
	v_lshlrev_b64 v[27:28], 3, v[2:3]
	v_lshlrev_b64 v[29:30], 3, v[10:11]
	v_add_co_u32 v27, vcc_lo, v17, v27
	v_add_co_ci_u32_e64 v28, null, v18, v28, vcc_lo
	v_add_co_u32 v29, vcc_lo, v23, v29
	v_add_co_ci_u32_e64 v30, null, v24, v30, vcc_lo
	global_load_dwordx2 v[27:28], v[27:28], off
	global_load_dwordx2 v[29:30], v[29:30], off
	s_waitcnt vmcnt(0)
	v_fmac_f32_e32 v12, v27, v29
	v_fmac_f32_e32 v21, v28, v29
	v_fma_f32 v12, -v28, v30, v12
	v_fmac_f32_e32 v21, v27, v30
	s_branch .LBB33_10
.LBB33_15:                              ;   in Loop: Header=BB33_8 Depth=2
	s_or_b32 exec_lo, exec_lo, s44
.LBB33_16:                              ;   in Loop: Header=BB33_8 Depth=2
	s_or_b32 exec_lo, exec_lo, s2
	v_lshlrev_b64 v[22:23], 3, v[4:5]
	v_cmp_le_i32_e64 s1, v1, v7
	s_mov_b32 s2, exec_lo
	v_add_co_u32 v22, vcc_lo, s30, v22
	v_add_co_ci_u32_e64 v23, null, s31, v23, vcc_lo
	global_load_dwordx2 v[22:23], v[22:23], off
	s_waitcnt vmcnt(0)
	v_sub_f32_e32 v20, v22, v12
	v_sub_f32_e32 v5, v23, v21
	v_cmpx_gt_i32_e64 v1, v7
	s_cbranch_execz .LBB33_18
; %bb.17:                               ;   in Loop: Header=BB33_8 Depth=2
	v_lshlrev_b64 v[11:12], 3, v[7:8]
	v_add_co_u32 v11, vcc_lo, s36, v11
	v_add_co_ci_u32_e64 v12, null, s37, v12, vcc_lo
	global_load_dwordx2 v[11:12], v[11:12], off
	s_waitcnt vmcnt(0)
	v_mul_f32_e32 v21, v12, v12
	v_fmac_f32_e32 v21, v11, v11
	v_div_scale_f32 v22, null, v21, v21, 1.0
	v_div_scale_f32 v25, vcc_lo, 1.0, v21, 1.0
	v_rcp_f32_e32 v23, v22
	v_fma_f32 v24, -v22, v23, 1.0
	v_fmac_f32_e32 v23, v24, v23
	v_mul_f32_e32 v24, v25, v23
	v_fma_f32 v26, -v22, v24, v25
	v_fmac_f32_e32 v24, v26, v23
	v_fma_f32 v22, -v22, v24, v25
	v_div_fmas_f32 v22, v22, v23, v24
	v_mul_f32_e32 v23, v5, v12
	v_mul_f32_e64 v12, v12, -v20
	v_div_fixup_f32 v21, v22, v21, 1.0
	v_fmac_f32_e32 v23, v20, v11
	v_fmac_f32_e32 v12, v5, v11
	v_mul_f32_e32 v20, v23, v21
	v_mul_f32_e32 v5, v12, v21
.LBB33_18:                              ;   in Loop: Header=BB33_8 Depth=2
	s_or_b32 exec_lo, exec_lo, s2
	v_cmp_gt_f32_e32 vcc_lo, 0, v20
                                        ; implicit-def: $vgpr21
	s_mov_b32 s2, exec_lo
	v_cndmask_b32_e64 v11, v20, -v20, vcc_lo
	v_cmp_gt_f32_e32 vcc_lo, 0, v5
	v_cndmask_b32_e64 v12, v5, -v5, vcc_lo
	v_cmpx_ngt_f32_e32 v11, v12
	s_xor_b32 s44, exec_lo, s2
	s_cbranch_execnz .LBB33_21
; %bb.19:                               ;   in Loop: Header=BB33_8 Depth=2
	s_andn2_saveexec_b32 s44, s44
	s_cbranch_execnz .LBB33_24
.LBB33_20:                              ;   in Loop: Header=BB33_8 Depth=2
	s_or_b32 exec_lo, exec_lo, s44
	v_cmp_class_f32_e64 s44, v21, 0x1f8
	s_and_saveexec_b32 s2, s44
	s_cbranch_execz .LBB33_7
	s_branch .LBB33_25
.LBB33_21:                              ;   in Loop: Header=BB33_8 Depth=2
	v_mov_b32_e32 v21, 0
	s_mov_b32 s45, exec_lo
	v_cmpx_neq_f32_e32 0, v5
	s_cbranch_execz .LBB33_23
; %bb.22:                               ;   in Loop: Header=BB33_8 Depth=2
	v_div_scale_f32 v21, null, v12, v12, v11
	v_div_scale_f32 v24, vcc_lo, v11, v12, v11
	v_rcp_f32_e32 v22, v21
	v_fma_f32 v23, -v21, v22, 1.0
	v_fmac_f32_e32 v22, v23, v22
	v_mul_f32_e32 v23, v24, v22
	v_fma_f32 v25, -v21, v23, v24
	v_fmac_f32_e32 v23, v25, v22
	v_fma_f32 v21, -v21, v23, v24
	v_div_fmas_f32 v21, v21, v22, v23
	v_div_fixup_f32 v11, v21, v12, v11
	v_fma_f32 v11, v11, v11, 1.0
	v_mul_f32_e32 v21, 0x4f800000, v11
	v_cmp_gt_f32_e32 vcc_lo, 0xf800000, v11
	v_cndmask_b32_e32 v11, v11, v21, vcc_lo
	v_sqrt_f32_e32 v21, v11
	v_add_nc_u32_e32 v22, -1, v21
	v_add_nc_u32_e32 v23, 1, v21
	v_fma_f32 v24, -v22, v21, v11
	v_fma_f32 v25, -v23, v21, v11
	v_cmp_ge_f32_e64 s2, 0, v24
	v_cndmask_b32_e64 v21, v21, v22, s2
	v_cmp_lt_f32_e64 s2, 0, v25
	v_cndmask_b32_e64 v21, v21, v23, s2
	v_mul_f32_e32 v22, 0x37800000, v21
	v_cndmask_b32_e32 v21, v21, v22, vcc_lo
	v_cmp_class_f32_e64 vcc_lo, v11, 0x260
	v_cndmask_b32_e32 v11, v21, v11, vcc_lo
	v_mul_f32_e32 v21, v12, v11
.LBB33_23:                              ;   in Loop: Header=BB33_8 Depth=2
	s_or_b32 exec_lo, exec_lo, s45
                                        ; implicit-def: $vgpr11
                                        ; implicit-def: $vgpr12
	s_andn2_saveexec_b32 s44, s44
	s_cbranch_execz .LBB33_20
.LBB33_24:                              ;   in Loop: Header=BB33_8 Depth=2
	v_div_scale_f32 v21, null, v11, v11, v12
	v_div_scale_f32 v24, vcc_lo, v12, v11, v12
	v_rcp_f32_e32 v22, v21
	v_fma_f32 v23, -v21, v22, 1.0
	v_fmac_f32_e32 v22, v23, v22
	v_mul_f32_e32 v23, v24, v22
	v_fma_f32 v25, -v21, v23, v24
	v_fmac_f32_e32 v23, v25, v22
	v_fma_f32 v21, -v21, v23, v24
	v_div_fmas_f32 v21, v21, v22, v23
	v_div_fixup_f32 v12, v21, v11, v12
	v_fma_f32 v12, v12, v12, 1.0
	v_mul_f32_e32 v21, 0x4f800000, v12
	v_cmp_gt_f32_e32 vcc_lo, 0xf800000, v12
	v_cndmask_b32_e32 v12, v12, v21, vcc_lo
	v_sqrt_f32_e32 v21, v12
	v_add_nc_u32_e32 v22, -1, v21
	v_add_nc_u32_e32 v23, 1, v21
	v_fma_f32 v24, -v22, v21, v12
	v_fma_f32 v25, -v23, v21, v12
	v_cmp_ge_f32_e64 s2, 0, v24
	v_cndmask_b32_e64 v21, v21, v22, s2
	v_cmp_lt_f32_e64 s2, 0, v25
	v_cndmask_b32_e64 v21, v21, v23, s2
	v_mul_f32_e32 v22, 0x37800000, v21
	v_cndmask_b32_e32 v21, v21, v22, vcc_lo
	v_cmp_class_f32_e64 vcc_lo, v12, 0x260
	v_cndmask_b32_e32 v12, v21, v12, vcc_lo
	v_mul_f32_e32 v21, v11, v12
	s_or_b32 exec_lo, exec_lo, s44
	v_cmp_class_f32_e64 s44, v21, 0x1f8
	s_and_saveexec_b32 s2, s44
	s_cbranch_execz .LBB33_7
.LBB33_25:                              ;   in Loop: Header=BB33_8 Depth=2
	s_mov_b32 s44, 0
                                        ; implicit-def: $vgpr11_vgpr12
	s_and_saveexec_b32 s45, s1
	s_xor_b32 s1, exec_lo, s45
	s_cbranch_execnz .LBB33_28
; %bb.26:                               ;   in Loop: Header=BB33_8 Depth=2
	s_andn2_saveexec_b32 s1, s1
	s_cbranch_execnz .LBB33_41
.LBB33_27:                              ;   in Loop: Header=BB33_8 Depth=2
	s_or_b32 exec_lo, exec_lo, s1
	s_and_b32 exec_lo, exec_lo, s44
	s_cbranch_execz .LBB33_7
	s_branch .LBB33_50
.LBB33_28:                              ;   in Loop: Header=BB33_8 Depth=2
	s_mov_b32 s45, exec_lo
                                        ; implicit-def: $vgpr11_vgpr12
	v_cmpx_ge_i32_e64 v1, v7
	s_xor_b32 s45, exec_lo, s45
	s_cbranch_execz .LBB33_30
; %bb.29:                               ;   in Loop: Header=BB33_8 Depth=2
	v_lshlrev_b64 v[7:8], 3, v[7:8]
	s_mov_b32 s44, exec_lo
                                        ; implicit-def: $vgpr10
                                        ; implicit-def: $vgpr19
                                        ; implicit-def: $vgpr9
	v_add_co_u32 v11, vcc_lo, s38, v7
	v_add_co_ci_u32_e64 v12, null, s39, v8, vcc_lo
	global_store_dword v[11:12], v20, off
                                        ; implicit-def: $vgpr20
.LBB33_30:                              ;   in Loop: Header=BB33_8 Depth=2
	s_andn2_saveexec_b32 s45, s45
	s_cbranch_execz .LBB33_40
; %bb.31:                               ;   in Loop: Header=BB33_8 Depth=2
	s_mov_b32 s47, s44
	s_mov_b32 s46, exec_lo
                                        ; implicit-def: $vgpr11_vgpr12
	v_cmpx_lt_i32_e64 v10, v19
	s_cbranch_execz .LBB33_39
; %bb.32:                               ;   in Loop: Header=BB33_8 Depth=2
	s_mov_b32 s48, 0
                                        ; implicit-def: $sgpr47
                                        ; implicit-def: $sgpr50
                                        ; implicit-def: $sgpr49
	s_inst_prefetch 0x1
	s_branch .LBB33_34
	.p2align	6
.LBB33_33:                              ;   in Loop: Header=BB33_34 Depth=3
	s_or_b32 exec_lo, exec_lo, s51
	s_and_b32 s51, exec_lo, s50
	s_or_b32 s48, s51, s48
	s_andn2_b32 s47, s47, exec_lo
	s_and_b32 s51, s49, exec_lo
	s_or_b32 s47, s47, s51
	s_andn2_b32 exec_lo, exec_lo, s48
	s_cbranch_execz .LBB33_36
.LBB33_34:                              ;   Parent Loop BB33_4 Depth=1
                                        ;     Parent Loop BB33_8 Depth=2
                                        ; =>    This Inner Loop Header: Depth=3
	v_add_nc_u32_e32 v7, v9, v10
	s_or_b32 s49, s49, exec_lo
	s_or_b32 s50, s50, exec_lo
	s_mov_b32 s51, exec_lo
	v_ashrrev_i32_e32 v8, 31, v7
	v_lshlrev_b64 v[11:12], 2, v[7:8]
	v_add_co_u32 v11, vcc_lo, s12, v11
	v_add_co_ci_u32_e64 v12, null, s13, v12, vcc_lo
	global_load_dword v2, v[11:12], off
	s_waitcnt vmcnt(0)
	v_subrev_nc_u32_e32 v2, s4, v2
	v_cmpx_ne_u32_e64 v2, v1
	s_cbranch_execz .LBB33_33
; %bb.35:                               ;   in Loop: Header=BB33_34 Depth=3
	v_add_nc_u32_e32 v10, 1, v10
	s_andn2_b32 s50, s50, exec_lo
	s_andn2_b32 s49, s49, exec_lo
	v_cmp_ge_i32_e32 vcc_lo, v10, v19
	s_and_b32 s52, vcc_lo, exec_lo
	s_or_b32 s50, s50, s52
	s_branch .LBB33_33
.LBB33_36:                              ;   in Loop: Header=BB33_8 Depth=2
	s_inst_prefetch 0x2
	s_or_b32 exec_lo, exec_lo, s48
	s_mov_b32 s48, s44
                                        ; implicit-def: $vgpr11_vgpr12
	s_and_saveexec_b32 s49, s47
	s_xor_b32 s47, exec_lo, s49
	s_cbranch_execz .LBB33_38
; %bb.37:                               ;   in Loop: Header=BB33_8 Depth=2
	v_lshlrev_b64 v[7:8], 3, v[7:8]
	s_or_b32 s48, s44, exec_lo
	v_add_co_u32 v11, vcc_lo, s34, v7
	v_add_co_ci_u32_e64 v12, null, s35, v8, vcc_lo
	global_store_dword v[11:12], v20, off
.LBB33_38:                              ;   in Loop: Header=BB33_8 Depth=2
	s_or_b32 exec_lo, exec_lo, s47
	s_andn2_b32 s47, s44, exec_lo
	s_and_b32 s48, s48, exec_lo
	s_or_b32 s47, s47, s48
.LBB33_39:                              ;   in Loop: Header=BB33_8 Depth=2
	s_or_b32 exec_lo, exec_lo, s46
	s_andn2_b32 s44, s44, exec_lo
	s_and_b32 s46, s47, exec_lo
	s_or_b32 s44, s44, s46
.LBB33_40:                              ;   in Loop: Header=BB33_8 Depth=2
	s_or_b32 exec_lo, exec_lo, s45
	s_and_b32 s44, s44, exec_lo
                                        ; implicit-def: $vgpr20
                                        ; implicit-def: $vgpr7_vgpr8
	s_andn2_saveexec_b32 s1, s1
	s_cbranch_execz .LBB33_27
.LBB33_41:                              ;   in Loop: Header=BB33_8 Depth=2
	s_mov_b32 s46, s44
	s_mov_b32 s45, exec_lo
                                        ; implicit-def: $vgpr11_vgpr12
	v_cmpx_lt_i32_e64 v2, v14
	s_cbranch_execz .LBB33_49
; %bb.42:                               ;   in Loop: Header=BB33_8 Depth=2
	s_mov_b32 s47, 0
                                        ; implicit-def: $sgpr46
                                        ; implicit-def: $sgpr49
                                        ; implicit-def: $sgpr48
	s_inst_prefetch 0x1
	s_branch .LBB33_44
	.p2align	6
.LBB33_43:                              ;   in Loop: Header=BB33_44 Depth=3
	s_or_b32 exec_lo, exec_lo, s50
	s_and_b32 s50, exec_lo, s49
	s_or_b32 s47, s50, s47
	s_andn2_b32 s46, s46, exec_lo
	s_and_b32 s50, s48, exec_lo
	s_or_b32 s46, s46, s50
	s_andn2_b32 exec_lo, exec_lo, s47
	s_cbranch_execz .LBB33_46
.LBB33_44:                              ;   Parent Loop BB33_4 Depth=1
                                        ;     Parent Loop BB33_8 Depth=2
                                        ; =>    This Inner Loop Header: Depth=3
	v_add_nc_u32_e32 v8, v6, v2
	s_or_b32 s48, s48, exec_lo
	s_or_b32 s49, s49, exec_lo
	s_mov_b32 s50, exec_lo
	v_ashrrev_i32_e32 v9, 31, v8
	v_lshlrev_b64 v[10:11], 2, v[8:9]
	v_add_co_u32 v10, vcc_lo, s20, v10
	v_add_co_ci_u32_e64 v11, null, s21, v11, vcc_lo
	global_load_dword v10, v[10:11], off
	s_waitcnt vmcnt(0)
	v_subrev_nc_u32_e32 v10, s41, v10
	v_cmpx_ne_u32_e64 v10, v7
	s_cbranch_execz .LBB33_43
; %bb.45:                               ;   in Loop: Header=BB33_44 Depth=3
	v_add_nc_u32_e32 v2, 1, v2
	s_andn2_b32 s49, s49, exec_lo
	s_andn2_b32 s48, s48, exec_lo
	v_cmp_ge_i32_e32 vcc_lo, v2, v14
	s_and_b32 s51, vcc_lo, exec_lo
	s_or_b32 s49, s49, s51
	s_branch .LBB33_43
.LBB33_46:                              ;   in Loop: Header=BB33_8 Depth=2
	s_inst_prefetch 0x2
	s_or_b32 exec_lo, exec_lo, s47
	s_mov_b32 s47, s44
                                        ; implicit-def: $vgpr11_vgpr12
	s_and_saveexec_b32 s48, s46
	s_xor_b32 s46, exec_lo, s48
	s_cbranch_execz .LBB33_48
; %bb.47:                               ;   in Loop: Header=BB33_8 Depth=2
	v_lshlrev_b64 v[7:8], 3, v[8:9]
	s_or_b32 s47, s44, exec_lo
	v_add_co_u32 v11, vcc_lo, s6, v7
	v_add_co_ci_u32_e64 v12, null, s7, v8, vcc_lo
	global_store_dword v[11:12], v20, off
.LBB33_48:                              ;   in Loop: Header=BB33_8 Depth=2
	s_or_b32 exec_lo, exec_lo, s46
	s_andn2_b32 s46, s44, exec_lo
	s_and_b32 s47, s47, exec_lo
	s_or_b32 s46, s46, s47
.LBB33_49:                              ;   in Loop: Header=BB33_8 Depth=2
	s_or_b32 exec_lo, exec_lo, s45
	s_andn2_b32 s44, s44, exec_lo
	s_and_b32 s45, s46, exec_lo
	s_or_b32 s44, s44, s45
	s_or_b32 exec_lo, exec_lo, s1
	s_and_b32 exec_lo, exec_lo, s44
	s_cbranch_execz .LBB33_7
.LBB33_50:                              ;   in Loop: Header=BB33_8 Depth=2
	global_store_dword v[11:12], v5, off offset:4
	s_branch .LBB33_7
.LBB33_51:
	s_endpgm
	.section	.rodata,"a",@progbits
	.p2align	6, 0x0
	.amdhsa_kernel _ZN9rocsparseL17kernel_correctionILi1024ELi32E21rocsparse_complex_numIfEiiEEvT3_T2_PKS4_S6_PKS3_PKT1_21rocsparse_index_base_S6_S6_S8_SB_PS9_SC_S6_S6_S8_SB_SD_SC_SB_SD_
		.amdhsa_group_segment_fixed_size 0
		.amdhsa_private_segment_fixed_size 0
		.amdhsa_kernarg_size 160
		.amdhsa_user_sgpr_count 6
		.amdhsa_user_sgpr_private_segment_buffer 1
		.amdhsa_user_sgpr_dispatch_ptr 0
		.amdhsa_user_sgpr_queue_ptr 0
		.amdhsa_user_sgpr_kernarg_segment_ptr 1
		.amdhsa_user_sgpr_dispatch_id 0
		.amdhsa_user_sgpr_flat_scratch_init 0
		.amdhsa_user_sgpr_private_segment_size 0
		.amdhsa_wavefront_size32 1
		.amdhsa_uses_dynamic_stack 0
		.amdhsa_system_sgpr_private_segment_wavefront_offset 0
		.amdhsa_system_sgpr_workgroup_id_x 1
		.amdhsa_system_sgpr_workgroup_id_y 0
		.amdhsa_system_sgpr_workgroup_id_z 0
		.amdhsa_system_sgpr_workgroup_info 0
		.amdhsa_system_vgpr_workitem_id 0
		.amdhsa_next_free_vgpr 31
		.amdhsa_next_free_sgpr 53
		.amdhsa_reserve_vcc 1
		.amdhsa_reserve_flat_scratch 0
		.amdhsa_float_round_mode_32 0
		.amdhsa_float_round_mode_16_64 0
		.amdhsa_float_denorm_mode_32 3
		.amdhsa_float_denorm_mode_16_64 3
		.amdhsa_dx10_clamp 1
		.amdhsa_ieee_mode 1
		.amdhsa_fp16_overflow 0
		.amdhsa_workgroup_processor_mode 1
		.amdhsa_memory_ordered 1
		.amdhsa_forward_progress 1
		.amdhsa_shared_vgpr_count 0
		.amdhsa_exception_fp_ieee_invalid_op 0
		.amdhsa_exception_fp_denorm_src 0
		.amdhsa_exception_fp_ieee_div_zero 0
		.amdhsa_exception_fp_ieee_overflow 0
		.amdhsa_exception_fp_ieee_underflow 0
		.amdhsa_exception_fp_ieee_inexact 0
		.amdhsa_exception_int_div_zero 0
	.end_amdhsa_kernel
	.section	.text._ZN9rocsparseL17kernel_correctionILi1024ELi32E21rocsparse_complex_numIfEiiEEvT3_T2_PKS4_S6_PKS3_PKT1_21rocsparse_index_base_S6_S6_S8_SB_PS9_SC_S6_S6_S8_SB_SD_SC_SB_SD_,"axG",@progbits,_ZN9rocsparseL17kernel_correctionILi1024ELi32E21rocsparse_complex_numIfEiiEEvT3_T2_PKS4_S6_PKS3_PKT1_21rocsparse_index_base_S6_S6_S8_SB_PS9_SC_S6_S6_S8_SB_SD_SC_SB_SD_,comdat
.Lfunc_end33:
	.size	_ZN9rocsparseL17kernel_correctionILi1024ELi32E21rocsparse_complex_numIfEiiEEvT3_T2_PKS4_S6_PKS3_PKT1_21rocsparse_index_base_S6_S6_S8_SB_PS9_SC_S6_S6_S8_SB_SD_SC_SB_SD_, .Lfunc_end33-_ZN9rocsparseL17kernel_correctionILi1024ELi32E21rocsparse_complex_numIfEiiEEvT3_T2_PKS4_S6_PKS3_PKT1_21rocsparse_index_base_S6_S6_S8_SB_PS9_SC_S6_S6_S8_SB_SD_SC_SB_SD_
                                        ; -- End function
	.set _ZN9rocsparseL17kernel_correctionILi1024ELi32E21rocsparse_complex_numIfEiiEEvT3_T2_PKS4_S6_PKS3_PKT1_21rocsparse_index_base_S6_S6_S8_SB_PS9_SC_S6_S6_S8_SB_SD_SC_SB_SD_.num_vgpr, 31
	.set _ZN9rocsparseL17kernel_correctionILi1024ELi32E21rocsparse_complex_numIfEiiEEvT3_T2_PKS4_S6_PKS3_PKT1_21rocsparse_index_base_S6_S6_S8_SB_PS9_SC_S6_S6_S8_SB_SD_SC_SB_SD_.num_agpr, 0
	.set _ZN9rocsparseL17kernel_correctionILi1024ELi32E21rocsparse_complex_numIfEiiEEvT3_T2_PKS4_S6_PKS3_PKT1_21rocsparse_index_base_S6_S6_S8_SB_PS9_SC_S6_S6_S8_SB_SD_SC_SB_SD_.numbered_sgpr, 53
	.set _ZN9rocsparseL17kernel_correctionILi1024ELi32E21rocsparse_complex_numIfEiiEEvT3_T2_PKS4_S6_PKS3_PKT1_21rocsparse_index_base_S6_S6_S8_SB_PS9_SC_S6_S6_S8_SB_SD_SC_SB_SD_.num_named_barrier, 0
	.set _ZN9rocsparseL17kernel_correctionILi1024ELi32E21rocsparse_complex_numIfEiiEEvT3_T2_PKS4_S6_PKS3_PKT1_21rocsparse_index_base_S6_S6_S8_SB_PS9_SC_S6_S6_S8_SB_SD_SC_SB_SD_.private_seg_size, 0
	.set _ZN9rocsparseL17kernel_correctionILi1024ELi32E21rocsparse_complex_numIfEiiEEvT3_T2_PKS4_S6_PKS3_PKT1_21rocsparse_index_base_S6_S6_S8_SB_PS9_SC_S6_S6_S8_SB_SD_SC_SB_SD_.uses_vcc, 1
	.set _ZN9rocsparseL17kernel_correctionILi1024ELi32E21rocsparse_complex_numIfEiiEEvT3_T2_PKS4_S6_PKS3_PKT1_21rocsparse_index_base_S6_S6_S8_SB_PS9_SC_S6_S6_S8_SB_SD_SC_SB_SD_.uses_flat_scratch, 0
	.set _ZN9rocsparseL17kernel_correctionILi1024ELi32E21rocsparse_complex_numIfEiiEEvT3_T2_PKS4_S6_PKS3_PKT1_21rocsparse_index_base_S6_S6_S8_SB_PS9_SC_S6_S6_S8_SB_SD_SC_SB_SD_.has_dyn_sized_stack, 0
	.set _ZN9rocsparseL17kernel_correctionILi1024ELi32E21rocsparse_complex_numIfEiiEEvT3_T2_PKS4_S6_PKS3_PKT1_21rocsparse_index_base_S6_S6_S8_SB_PS9_SC_S6_S6_S8_SB_SD_SC_SB_SD_.has_recursion, 0
	.set _ZN9rocsparseL17kernel_correctionILi1024ELi32E21rocsparse_complex_numIfEiiEEvT3_T2_PKS4_S6_PKS3_PKT1_21rocsparse_index_base_S6_S6_S8_SB_PS9_SC_S6_S6_S8_SB_SD_SC_SB_SD_.has_indirect_call, 0
	.section	.AMDGPU.csdata,"",@progbits
; Kernel info:
; codeLenInByte = 2428
; TotalNumSgprs: 55
; NumVgprs: 31
; ScratchSize: 0
; MemoryBound: 0
; FloatMode: 240
; IeeeMode: 1
; LDSByteSize: 0 bytes/workgroup (compile time only)
; SGPRBlocks: 0
; VGPRBlocks: 3
; NumSGPRsForWavesPerEU: 55
; NumVGPRsForWavesPerEU: 31
; Occupancy: 16
; WaveLimiterHint : 1
; COMPUTE_PGM_RSRC2:SCRATCH_EN: 0
; COMPUTE_PGM_RSRC2:USER_SGPR: 6
; COMPUTE_PGM_RSRC2:TRAP_HANDLER: 0
; COMPUTE_PGM_RSRC2:TGID_X_EN: 1
; COMPUTE_PGM_RSRC2:TGID_Y_EN: 0
; COMPUTE_PGM_RSRC2:TGID_Z_EN: 0
; COMPUTE_PGM_RSRC2:TIDIG_COMP_CNT: 0
	.section	.text._ZN9rocsparseL17kernel_correctionILi1024ELi64E21rocsparse_complex_numIfEiiEEvT3_T2_PKS4_S6_PKS3_PKT1_21rocsparse_index_base_S6_S6_S8_SB_PS9_SC_S6_S6_S8_SB_SD_SC_SB_SD_,"axG",@progbits,_ZN9rocsparseL17kernel_correctionILi1024ELi64E21rocsparse_complex_numIfEiiEEvT3_T2_PKS4_S6_PKS3_PKT1_21rocsparse_index_base_S6_S6_S8_SB_PS9_SC_S6_S6_S8_SB_SD_SC_SB_SD_,comdat
	.globl	_ZN9rocsparseL17kernel_correctionILi1024ELi64E21rocsparse_complex_numIfEiiEEvT3_T2_PKS4_S6_PKS3_PKT1_21rocsparse_index_base_S6_S6_S8_SB_PS9_SC_S6_S6_S8_SB_SD_SC_SB_SD_ ; -- Begin function _ZN9rocsparseL17kernel_correctionILi1024ELi64E21rocsparse_complex_numIfEiiEEvT3_T2_PKS4_S6_PKS3_PKT1_21rocsparse_index_base_S6_S6_S8_SB_PS9_SC_S6_S6_S8_SB_SD_SC_SB_SD_
	.p2align	8
	.type	_ZN9rocsparseL17kernel_correctionILi1024ELi64E21rocsparse_complex_numIfEiiEEvT3_T2_PKS4_S6_PKS3_PKT1_21rocsparse_index_base_S6_S6_S8_SB_PS9_SC_S6_S6_S8_SB_SD_SC_SB_SD_,@function
_ZN9rocsparseL17kernel_correctionILi1024ELi64E21rocsparse_complex_numIfEiiEEvT3_T2_PKS4_S6_PKS3_PKT1_21rocsparse_index_base_S6_S6_S8_SB_PS9_SC_S6_S6_S8_SB_SD_SC_SB_SD_: ; @_ZN9rocsparseL17kernel_correctionILi1024ELi64E21rocsparse_complex_numIfEiiEEvT3_T2_PKS4_S6_PKS3_PKT1_21rocsparse_index_base_S6_S6_S8_SB_PS9_SC_S6_S6_S8_SB_SD_SC_SB_SD_
; %bb.0:
	s_load_dword s3, s[4:5], 0x0
	v_lshrrev_b32_e32 v1, 6, v0
	s_lshl_b32 s33, s6, 10
	s_mov_b32 s0, exec_lo
	v_or_b32_e32 v1, s33, v1
	s_waitcnt lgkmcnt(0)
	v_cmpx_gt_i32_e64 s3, v1
	s_cbranch_execz .LBB34_51
; %bb.1:
	s_addk_i32 s33, 0x400
	v_cmp_gt_u32_e32 vcc_lo, s33, v1
	s_and_b32 exec_lo, exec_lo, vcc_lo
	s_cbranch_execz .LBB34_51
; %bb.2:
	s_clause 0x8
	s_load_dwordx4 s[36:39], s[4:5], 0x90
	s_load_dwordx8 s[8:15], s[4:5], 0x60
	s_load_dword s40, s[4:5], 0x28
	s_load_dwordx8 s[16:23], s[4:5], 0x30
	s_load_dwordx8 s[24:31], s[4:5], 0x8
	s_load_dwordx2 s[6:7], s[4:5], 0x50
	s_load_dword s41, s[4:5], 0x58
	s_load_dwordx2 s[34:35], s[4:5], 0x80
	s_load_dword s4, s[4:5], 0x88
	v_and_b32_e32 v0, 63, v0
	v_mov_b32_e32 v3, 0
	s_mov_b32 s5, 0
	s_waitcnt lgkmcnt(0)
	v_subrev_nc_u32_e32 v0, s40, v0
	s_branch .LBB34_4
.LBB34_3:                               ;   in Loop: Header=BB34_4 Depth=1
	s_or_b32 exec_lo, exec_lo, s42
	v_add_nc_u32_e32 v1, 16, v1
	v_cmp_le_u32_e32 vcc_lo, s33, v1
	s_or_b32 s5, vcc_lo, s5
	s_andn2_b32 exec_lo, exec_lo, s5
	s_cbranch_execz .LBB34_51
.LBB34_4:                               ; =>This Loop Header: Depth=1
                                        ;     Child Loop BB34_8 Depth 2
                                        ;       Child Loop BB34_12 Depth 3
                                        ;       Child Loop BB34_34 Depth 3
	;; [unrolled: 1-line block ×3, first 2 shown]
	s_mov_b32 s42, exec_lo
	v_cmpx_gt_i32_e64 s3, v1
	s_cbranch_execz .LBB34_3
; %bb.5:                                ;   in Loop: Header=BB34_4 Depth=1
	v_ashrrev_i32_e32 v2, 31, v1
	v_lshlrev_b64 v[5:6], 2, v[1:2]
	v_add_co_u32 v7, vcc_lo, s24, v5
	v_add_co_ci_u32_e64 v8, null, s25, v6, vcc_lo
	v_add_co_u32 v9, vcc_lo, s26, v5
	v_add_co_ci_u32_e64 v10, null, s27, v6, vcc_lo
	global_load_dword v2, v[7:8], off
	global_load_dword v7, v[9:10], off
	s_waitcnt vmcnt(1)
	v_add_nc_u32_e32 v4, v0, v2
	s_waitcnt vmcnt(0)
	v_subrev_nc_u32_e32 v13, s40, v7
	v_cmp_lt_i32_e32 vcc_lo, v4, v13
	s_and_b32 exec_lo, exec_lo, vcc_lo
	s_cbranch_execz .LBB34_3
; %bb.6:                                ;   in Loop: Header=BB34_4 Depth=1
	v_add_co_u32 v7, vcc_lo, s16, v5
	v_add_co_ci_u32_e64 v8, null, s17, v6, vcc_lo
	v_add_co_u32 v5, vcc_lo, s18, v5
	v_add_co_ci_u32_e64 v6, null, s19, v6, vcc_lo
	global_load_dword v2, v[7:8], off
	s_mov_b32 s43, 0
	global_load_dword v5, v[5:6], off
	s_waitcnt vmcnt(1)
	v_subrev_nc_u32_e32 v6, s41, v2
	s_waitcnt vmcnt(0)
	v_sub_nc_u32_e32 v14, v5, v2
	v_ashrrev_i32_e32 v7, 31, v6
	v_cmp_lt_i32_e64 s0, 0, v14
	v_lshlrev_b64 v[8:9], 2, v[6:7]
	v_lshlrev_b64 v[10:11], 3, v[6:7]
	v_add_co_u32 v15, vcc_lo, s20, v8
	v_add_co_ci_u32_e64 v16, null, s21, v9, vcc_lo
	v_add_co_u32 v17, vcc_lo, s22, v10
	v_add_co_ci_u32_e64 v18, null, s23, v11, vcc_lo
	s_branch .LBB34_8
.LBB34_7:                               ;   in Loop: Header=BB34_8 Depth=2
	s_or_b32 exec_lo, exec_lo, s2
	v_add_nc_u32_e32 v4, 64, v4
	v_cmp_ge_i32_e32 vcc_lo, v4, v13
	s_or_b32 s43, vcc_lo, s43
	s_andn2_b32 exec_lo, exec_lo, s43
	s_cbranch_execz .LBB34_3
.LBB34_8:                               ;   Parent Loop BB34_4 Depth=1
                                        ; =>  This Loop Header: Depth=2
                                        ;       Child Loop BB34_12 Depth 3
                                        ;       Child Loop BB34_34 Depth 3
	;; [unrolled: 1-line block ×3, first 2 shown]
	v_ashrrev_i32_e32 v5, 31, v4
	v_mov_b32_e32 v21, 0
	v_lshlrev_b64 v[7:8], 2, v[4:5]
	v_add_co_u32 v7, vcc_lo, s28, v7
	v_add_co_ci_u32_e64 v8, null, s29, v8, vcc_lo
	global_load_dword v2, v[7:8], off
	s_waitcnt vmcnt(0)
	v_subrev_nc_u32_e32 v7, s40, v2
	v_mov_b32_e32 v2, 0
	v_ashrrev_i32_e32 v8, 31, v7
	v_lshlrev_b64 v[9:10], 2, v[7:8]
	v_add_co_u32 v11, vcc_lo, s8, v9
	v_add_co_ci_u32_e64 v12, null, s9, v10, vcc_lo
	v_add_co_u32 v9, vcc_lo, s10, v9
	v_add_co_ci_u32_e64 v10, null, s11, v10, vcc_lo
	global_load_dword v11, v[11:12], off
	global_load_dword v10, v[9:10], off
	v_mov_b32_e32 v12, 0
	s_waitcnt vmcnt(1)
	v_subrev_nc_u32_e32 v9, s4, v11
	s_waitcnt vmcnt(0)
	v_sub_nc_u32_e32 v19, v10, v11
	v_mov_b32_e32 v10, v2
	s_and_saveexec_b32 s2, s0
	s_cbranch_execz .LBB34_16
; %bb.9:                                ;   in Loop: Header=BB34_8 Depth=2
	v_ashrrev_i32_e32 v10, 31, v9
	v_mov_b32_e32 v12, 0
	v_mov_b32_e32 v2, 0
	s_mov_b32 s44, 0
                                        ; implicit-def: $sgpr45
	v_lshlrev_b64 v[20:21], 2, v[9:10]
	v_lshlrev_b64 v[10:11], 3, v[9:10]
	v_add_co_u32 v20, vcc_lo, s12, v20
	v_add_co_ci_u32_e64 v22, null, s13, v21, vcc_lo
	v_add_co_u32 v23, vcc_lo, s14, v10
	v_add_co_ci_u32_e64 v24, null, s15, v11, vcc_lo
	v_mov_b32_e32 v10, 0
	v_mov_b32_e32 v21, 0
	s_branch .LBB34_12
.LBB34_10:                              ;   in Loop: Header=BB34_12 Depth=3
	s_or_b32 exec_lo, exec_lo, s1
	v_cmp_le_i32_e32 vcc_lo, v25, v26
	v_cmp_ge_i32_e64 s1, v25, v26
	v_add_co_ci_u32_e64 v2, null, 0, v2, vcc_lo
	v_add_co_ci_u32_e64 v10, null, 0, v10, s1
	s_andn2_b32 s1, s45, exec_lo
	v_cmp_ge_i32_e32 vcc_lo, v2, v14
	s_and_b32 s45, vcc_lo, exec_lo
	s_or_b32 s45, s1, s45
.LBB34_11:                              ;   in Loop: Header=BB34_12 Depth=3
	s_or_b32 exec_lo, exec_lo, s46
	s_and_b32 s1, exec_lo, s45
	s_or_b32 s44, s1, s44
	s_andn2_b32 exec_lo, exec_lo, s44
	s_cbranch_execz .LBB34_15
.LBB34_12:                              ;   Parent Loop BB34_4 Depth=1
                                        ;     Parent Loop BB34_8 Depth=2
                                        ; =>    This Inner Loop Header: Depth=3
	s_or_b32 s45, s45, exec_lo
	s_mov_b32 s46, exec_lo
	v_cmpx_lt_i32_e64 v10, v19
	s_cbranch_execz .LBB34_11
; %bb.13:                               ;   in Loop: Header=BB34_12 Depth=3
	v_mov_b32_e32 v11, v3
	v_lshlrev_b64 v[25:26], 2, v[2:3]
	s_mov_b32 s1, exec_lo
	v_lshlrev_b64 v[27:28], 2, v[10:11]
	v_add_co_u32 v25, vcc_lo, v15, v25
	v_add_co_ci_u32_e64 v26, null, v16, v26, vcc_lo
	v_add_co_u32 v27, vcc_lo, v20, v27
	v_add_co_ci_u32_e64 v28, null, v22, v28, vcc_lo
	global_load_dword v25, v[25:26], off
	global_load_dword v26, v[27:28], off
	s_waitcnt vmcnt(1)
	v_subrev_nc_u32_e32 v25, s41, v25
	s_waitcnt vmcnt(0)
	v_subrev_nc_u32_e32 v26, s4, v26
	v_cmpx_eq_u32_e64 v25, v26
	s_cbranch_execz .LBB34_10
; %bb.14:                               ;   in Loop: Header=BB34_12 Depth=3
	v_lshlrev_b64 v[27:28], 3, v[2:3]
	v_lshlrev_b64 v[29:30], 3, v[10:11]
	v_add_co_u32 v27, vcc_lo, v17, v27
	v_add_co_ci_u32_e64 v28, null, v18, v28, vcc_lo
	v_add_co_u32 v29, vcc_lo, v23, v29
	v_add_co_ci_u32_e64 v30, null, v24, v30, vcc_lo
	global_load_dwordx2 v[27:28], v[27:28], off
	global_load_dwordx2 v[29:30], v[29:30], off
	s_waitcnt vmcnt(0)
	v_fmac_f32_e32 v12, v27, v29
	v_fmac_f32_e32 v21, v28, v29
	v_fma_f32 v12, -v28, v30, v12
	v_fmac_f32_e32 v21, v27, v30
	s_branch .LBB34_10
.LBB34_15:                              ;   in Loop: Header=BB34_8 Depth=2
	s_or_b32 exec_lo, exec_lo, s44
.LBB34_16:                              ;   in Loop: Header=BB34_8 Depth=2
	s_or_b32 exec_lo, exec_lo, s2
	v_lshlrev_b64 v[22:23], 3, v[4:5]
	v_cmp_le_i32_e64 s1, v1, v7
	s_mov_b32 s2, exec_lo
	v_add_co_u32 v22, vcc_lo, s30, v22
	v_add_co_ci_u32_e64 v23, null, s31, v23, vcc_lo
	global_load_dwordx2 v[22:23], v[22:23], off
	s_waitcnt vmcnt(0)
	v_sub_f32_e32 v20, v22, v12
	v_sub_f32_e32 v5, v23, v21
	v_cmpx_gt_i32_e64 v1, v7
	s_cbranch_execz .LBB34_18
; %bb.17:                               ;   in Loop: Header=BB34_8 Depth=2
	v_lshlrev_b64 v[11:12], 3, v[7:8]
	v_add_co_u32 v11, vcc_lo, s36, v11
	v_add_co_ci_u32_e64 v12, null, s37, v12, vcc_lo
	global_load_dwordx2 v[11:12], v[11:12], off
	s_waitcnt vmcnt(0)
	v_mul_f32_e32 v21, v12, v12
	v_fmac_f32_e32 v21, v11, v11
	v_div_scale_f32 v22, null, v21, v21, 1.0
	v_div_scale_f32 v25, vcc_lo, 1.0, v21, 1.0
	v_rcp_f32_e32 v23, v22
	v_fma_f32 v24, -v22, v23, 1.0
	v_fmac_f32_e32 v23, v24, v23
	v_mul_f32_e32 v24, v25, v23
	v_fma_f32 v26, -v22, v24, v25
	v_fmac_f32_e32 v24, v26, v23
	v_fma_f32 v22, -v22, v24, v25
	v_div_fmas_f32 v22, v22, v23, v24
	v_mul_f32_e32 v23, v5, v12
	v_mul_f32_e64 v12, v12, -v20
	v_div_fixup_f32 v21, v22, v21, 1.0
	v_fmac_f32_e32 v23, v20, v11
	v_fmac_f32_e32 v12, v5, v11
	v_mul_f32_e32 v20, v23, v21
	v_mul_f32_e32 v5, v12, v21
.LBB34_18:                              ;   in Loop: Header=BB34_8 Depth=2
	s_or_b32 exec_lo, exec_lo, s2
	v_cmp_gt_f32_e32 vcc_lo, 0, v20
                                        ; implicit-def: $vgpr21
	s_mov_b32 s2, exec_lo
	v_cndmask_b32_e64 v11, v20, -v20, vcc_lo
	v_cmp_gt_f32_e32 vcc_lo, 0, v5
	v_cndmask_b32_e64 v12, v5, -v5, vcc_lo
	v_cmpx_ngt_f32_e32 v11, v12
	s_xor_b32 s44, exec_lo, s2
	s_cbranch_execnz .LBB34_21
; %bb.19:                               ;   in Loop: Header=BB34_8 Depth=2
	s_andn2_saveexec_b32 s44, s44
	s_cbranch_execnz .LBB34_24
.LBB34_20:                              ;   in Loop: Header=BB34_8 Depth=2
	s_or_b32 exec_lo, exec_lo, s44
	v_cmp_class_f32_e64 s44, v21, 0x1f8
	s_and_saveexec_b32 s2, s44
	s_cbranch_execz .LBB34_7
	s_branch .LBB34_25
.LBB34_21:                              ;   in Loop: Header=BB34_8 Depth=2
	v_mov_b32_e32 v21, 0
	s_mov_b32 s45, exec_lo
	v_cmpx_neq_f32_e32 0, v5
	s_cbranch_execz .LBB34_23
; %bb.22:                               ;   in Loop: Header=BB34_8 Depth=2
	v_div_scale_f32 v21, null, v12, v12, v11
	v_div_scale_f32 v24, vcc_lo, v11, v12, v11
	v_rcp_f32_e32 v22, v21
	v_fma_f32 v23, -v21, v22, 1.0
	v_fmac_f32_e32 v22, v23, v22
	v_mul_f32_e32 v23, v24, v22
	v_fma_f32 v25, -v21, v23, v24
	v_fmac_f32_e32 v23, v25, v22
	v_fma_f32 v21, -v21, v23, v24
	v_div_fmas_f32 v21, v21, v22, v23
	v_div_fixup_f32 v11, v21, v12, v11
	v_fma_f32 v11, v11, v11, 1.0
	v_mul_f32_e32 v21, 0x4f800000, v11
	v_cmp_gt_f32_e32 vcc_lo, 0xf800000, v11
	v_cndmask_b32_e32 v11, v11, v21, vcc_lo
	v_sqrt_f32_e32 v21, v11
	v_add_nc_u32_e32 v22, -1, v21
	v_add_nc_u32_e32 v23, 1, v21
	v_fma_f32 v24, -v22, v21, v11
	v_fma_f32 v25, -v23, v21, v11
	v_cmp_ge_f32_e64 s2, 0, v24
	v_cndmask_b32_e64 v21, v21, v22, s2
	v_cmp_lt_f32_e64 s2, 0, v25
	v_cndmask_b32_e64 v21, v21, v23, s2
	v_mul_f32_e32 v22, 0x37800000, v21
	v_cndmask_b32_e32 v21, v21, v22, vcc_lo
	v_cmp_class_f32_e64 vcc_lo, v11, 0x260
	v_cndmask_b32_e32 v11, v21, v11, vcc_lo
	v_mul_f32_e32 v21, v12, v11
.LBB34_23:                              ;   in Loop: Header=BB34_8 Depth=2
	s_or_b32 exec_lo, exec_lo, s45
                                        ; implicit-def: $vgpr11
                                        ; implicit-def: $vgpr12
	s_andn2_saveexec_b32 s44, s44
	s_cbranch_execz .LBB34_20
.LBB34_24:                              ;   in Loop: Header=BB34_8 Depth=2
	v_div_scale_f32 v21, null, v11, v11, v12
	v_div_scale_f32 v24, vcc_lo, v12, v11, v12
	v_rcp_f32_e32 v22, v21
	v_fma_f32 v23, -v21, v22, 1.0
	v_fmac_f32_e32 v22, v23, v22
	v_mul_f32_e32 v23, v24, v22
	v_fma_f32 v25, -v21, v23, v24
	v_fmac_f32_e32 v23, v25, v22
	v_fma_f32 v21, -v21, v23, v24
	v_div_fmas_f32 v21, v21, v22, v23
	v_div_fixup_f32 v12, v21, v11, v12
	v_fma_f32 v12, v12, v12, 1.0
	v_mul_f32_e32 v21, 0x4f800000, v12
	v_cmp_gt_f32_e32 vcc_lo, 0xf800000, v12
	v_cndmask_b32_e32 v12, v12, v21, vcc_lo
	v_sqrt_f32_e32 v21, v12
	v_add_nc_u32_e32 v22, -1, v21
	v_add_nc_u32_e32 v23, 1, v21
	v_fma_f32 v24, -v22, v21, v12
	v_fma_f32 v25, -v23, v21, v12
	v_cmp_ge_f32_e64 s2, 0, v24
	v_cndmask_b32_e64 v21, v21, v22, s2
	v_cmp_lt_f32_e64 s2, 0, v25
	v_cndmask_b32_e64 v21, v21, v23, s2
	v_mul_f32_e32 v22, 0x37800000, v21
	v_cndmask_b32_e32 v21, v21, v22, vcc_lo
	v_cmp_class_f32_e64 vcc_lo, v12, 0x260
	v_cndmask_b32_e32 v12, v21, v12, vcc_lo
	v_mul_f32_e32 v21, v11, v12
	s_or_b32 exec_lo, exec_lo, s44
	v_cmp_class_f32_e64 s44, v21, 0x1f8
	s_and_saveexec_b32 s2, s44
	s_cbranch_execz .LBB34_7
.LBB34_25:                              ;   in Loop: Header=BB34_8 Depth=2
	s_mov_b32 s44, 0
                                        ; implicit-def: $vgpr11_vgpr12
	s_and_saveexec_b32 s45, s1
	s_xor_b32 s1, exec_lo, s45
	s_cbranch_execnz .LBB34_28
; %bb.26:                               ;   in Loop: Header=BB34_8 Depth=2
	s_andn2_saveexec_b32 s1, s1
	s_cbranch_execnz .LBB34_41
.LBB34_27:                              ;   in Loop: Header=BB34_8 Depth=2
	s_or_b32 exec_lo, exec_lo, s1
	s_and_b32 exec_lo, exec_lo, s44
	s_cbranch_execz .LBB34_7
	s_branch .LBB34_50
.LBB34_28:                              ;   in Loop: Header=BB34_8 Depth=2
	s_mov_b32 s45, exec_lo
                                        ; implicit-def: $vgpr11_vgpr12
	v_cmpx_ge_i32_e64 v1, v7
	s_xor_b32 s45, exec_lo, s45
	s_cbranch_execz .LBB34_30
; %bb.29:                               ;   in Loop: Header=BB34_8 Depth=2
	v_lshlrev_b64 v[7:8], 3, v[7:8]
	s_mov_b32 s44, exec_lo
                                        ; implicit-def: $vgpr10
                                        ; implicit-def: $vgpr19
                                        ; implicit-def: $vgpr9
	v_add_co_u32 v11, vcc_lo, s38, v7
	v_add_co_ci_u32_e64 v12, null, s39, v8, vcc_lo
	global_store_dword v[11:12], v20, off
                                        ; implicit-def: $vgpr20
.LBB34_30:                              ;   in Loop: Header=BB34_8 Depth=2
	s_andn2_saveexec_b32 s45, s45
	s_cbranch_execz .LBB34_40
; %bb.31:                               ;   in Loop: Header=BB34_8 Depth=2
	s_mov_b32 s47, s44
	s_mov_b32 s46, exec_lo
                                        ; implicit-def: $vgpr11_vgpr12
	v_cmpx_lt_i32_e64 v10, v19
	s_cbranch_execz .LBB34_39
; %bb.32:                               ;   in Loop: Header=BB34_8 Depth=2
	s_mov_b32 s48, 0
                                        ; implicit-def: $sgpr47
                                        ; implicit-def: $sgpr50
                                        ; implicit-def: $sgpr49
	s_inst_prefetch 0x1
	s_branch .LBB34_34
	.p2align	6
.LBB34_33:                              ;   in Loop: Header=BB34_34 Depth=3
	s_or_b32 exec_lo, exec_lo, s51
	s_and_b32 s51, exec_lo, s50
	s_or_b32 s48, s51, s48
	s_andn2_b32 s47, s47, exec_lo
	s_and_b32 s51, s49, exec_lo
	s_or_b32 s47, s47, s51
	s_andn2_b32 exec_lo, exec_lo, s48
	s_cbranch_execz .LBB34_36
.LBB34_34:                              ;   Parent Loop BB34_4 Depth=1
                                        ;     Parent Loop BB34_8 Depth=2
                                        ; =>    This Inner Loop Header: Depth=3
	v_add_nc_u32_e32 v7, v9, v10
	s_or_b32 s49, s49, exec_lo
	s_or_b32 s50, s50, exec_lo
	s_mov_b32 s51, exec_lo
	v_ashrrev_i32_e32 v8, 31, v7
	v_lshlrev_b64 v[11:12], 2, v[7:8]
	v_add_co_u32 v11, vcc_lo, s12, v11
	v_add_co_ci_u32_e64 v12, null, s13, v12, vcc_lo
	global_load_dword v2, v[11:12], off
	s_waitcnt vmcnt(0)
	v_subrev_nc_u32_e32 v2, s4, v2
	v_cmpx_ne_u32_e64 v2, v1
	s_cbranch_execz .LBB34_33
; %bb.35:                               ;   in Loop: Header=BB34_34 Depth=3
	v_add_nc_u32_e32 v10, 1, v10
	s_andn2_b32 s50, s50, exec_lo
	s_andn2_b32 s49, s49, exec_lo
	v_cmp_ge_i32_e32 vcc_lo, v10, v19
	s_and_b32 s52, vcc_lo, exec_lo
	s_or_b32 s50, s50, s52
	s_branch .LBB34_33
.LBB34_36:                              ;   in Loop: Header=BB34_8 Depth=2
	s_inst_prefetch 0x2
	s_or_b32 exec_lo, exec_lo, s48
	s_mov_b32 s48, s44
                                        ; implicit-def: $vgpr11_vgpr12
	s_and_saveexec_b32 s49, s47
	s_xor_b32 s47, exec_lo, s49
	s_cbranch_execz .LBB34_38
; %bb.37:                               ;   in Loop: Header=BB34_8 Depth=2
	v_lshlrev_b64 v[7:8], 3, v[7:8]
	s_or_b32 s48, s44, exec_lo
	v_add_co_u32 v11, vcc_lo, s34, v7
	v_add_co_ci_u32_e64 v12, null, s35, v8, vcc_lo
	global_store_dword v[11:12], v20, off
.LBB34_38:                              ;   in Loop: Header=BB34_8 Depth=2
	s_or_b32 exec_lo, exec_lo, s47
	s_andn2_b32 s47, s44, exec_lo
	s_and_b32 s48, s48, exec_lo
	s_or_b32 s47, s47, s48
.LBB34_39:                              ;   in Loop: Header=BB34_8 Depth=2
	s_or_b32 exec_lo, exec_lo, s46
	s_andn2_b32 s44, s44, exec_lo
	s_and_b32 s46, s47, exec_lo
	s_or_b32 s44, s44, s46
.LBB34_40:                              ;   in Loop: Header=BB34_8 Depth=2
	s_or_b32 exec_lo, exec_lo, s45
	s_and_b32 s44, s44, exec_lo
                                        ; implicit-def: $vgpr20
                                        ; implicit-def: $vgpr7_vgpr8
	s_andn2_saveexec_b32 s1, s1
	s_cbranch_execz .LBB34_27
.LBB34_41:                              ;   in Loop: Header=BB34_8 Depth=2
	s_mov_b32 s46, s44
	s_mov_b32 s45, exec_lo
                                        ; implicit-def: $vgpr11_vgpr12
	v_cmpx_lt_i32_e64 v2, v14
	s_cbranch_execz .LBB34_49
; %bb.42:                               ;   in Loop: Header=BB34_8 Depth=2
	s_mov_b32 s47, 0
                                        ; implicit-def: $sgpr46
                                        ; implicit-def: $sgpr49
                                        ; implicit-def: $sgpr48
	s_inst_prefetch 0x1
	s_branch .LBB34_44
	.p2align	6
.LBB34_43:                              ;   in Loop: Header=BB34_44 Depth=3
	s_or_b32 exec_lo, exec_lo, s50
	s_and_b32 s50, exec_lo, s49
	s_or_b32 s47, s50, s47
	s_andn2_b32 s46, s46, exec_lo
	s_and_b32 s50, s48, exec_lo
	s_or_b32 s46, s46, s50
	s_andn2_b32 exec_lo, exec_lo, s47
	s_cbranch_execz .LBB34_46
.LBB34_44:                              ;   Parent Loop BB34_4 Depth=1
                                        ;     Parent Loop BB34_8 Depth=2
                                        ; =>    This Inner Loop Header: Depth=3
	v_add_nc_u32_e32 v8, v6, v2
	s_or_b32 s48, s48, exec_lo
	s_or_b32 s49, s49, exec_lo
	s_mov_b32 s50, exec_lo
	v_ashrrev_i32_e32 v9, 31, v8
	v_lshlrev_b64 v[10:11], 2, v[8:9]
	v_add_co_u32 v10, vcc_lo, s20, v10
	v_add_co_ci_u32_e64 v11, null, s21, v11, vcc_lo
	global_load_dword v10, v[10:11], off
	s_waitcnt vmcnt(0)
	v_subrev_nc_u32_e32 v10, s41, v10
	v_cmpx_ne_u32_e64 v10, v7
	s_cbranch_execz .LBB34_43
; %bb.45:                               ;   in Loop: Header=BB34_44 Depth=3
	v_add_nc_u32_e32 v2, 1, v2
	s_andn2_b32 s49, s49, exec_lo
	s_andn2_b32 s48, s48, exec_lo
	v_cmp_ge_i32_e32 vcc_lo, v2, v14
	s_and_b32 s51, vcc_lo, exec_lo
	s_or_b32 s49, s49, s51
	s_branch .LBB34_43
.LBB34_46:                              ;   in Loop: Header=BB34_8 Depth=2
	s_inst_prefetch 0x2
	s_or_b32 exec_lo, exec_lo, s47
	s_mov_b32 s47, s44
                                        ; implicit-def: $vgpr11_vgpr12
	s_and_saveexec_b32 s48, s46
	s_xor_b32 s46, exec_lo, s48
	s_cbranch_execz .LBB34_48
; %bb.47:                               ;   in Loop: Header=BB34_8 Depth=2
	v_lshlrev_b64 v[7:8], 3, v[8:9]
	s_or_b32 s47, s44, exec_lo
	v_add_co_u32 v11, vcc_lo, s6, v7
	v_add_co_ci_u32_e64 v12, null, s7, v8, vcc_lo
	global_store_dword v[11:12], v20, off
.LBB34_48:                              ;   in Loop: Header=BB34_8 Depth=2
	s_or_b32 exec_lo, exec_lo, s46
	s_andn2_b32 s46, s44, exec_lo
	s_and_b32 s47, s47, exec_lo
	s_or_b32 s46, s46, s47
.LBB34_49:                              ;   in Loop: Header=BB34_8 Depth=2
	s_or_b32 exec_lo, exec_lo, s45
	s_andn2_b32 s44, s44, exec_lo
	s_and_b32 s45, s46, exec_lo
	s_or_b32 s44, s44, s45
	s_or_b32 exec_lo, exec_lo, s1
	s_and_b32 exec_lo, exec_lo, s44
	s_cbranch_execz .LBB34_7
.LBB34_50:                              ;   in Loop: Header=BB34_8 Depth=2
	global_store_dword v[11:12], v5, off offset:4
	s_branch .LBB34_7
.LBB34_51:
	s_endpgm
	.section	.rodata,"a",@progbits
	.p2align	6, 0x0
	.amdhsa_kernel _ZN9rocsparseL17kernel_correctionILi1024ELi64E21rocsparse_complex_numIfEiiEEvT3_T2_PKS4_S6_PKS3_PKT1_21rocsparse_index_base_S6_S6_S8_SB_PS9_SC_S6_S6_S8_SB_SD_SC_SB_SD_
		.amdhsa_group_segment_fixed_size 0
		.amdhsa_private_segment_fixed_size 0
		.amdhsa_kernarg_size 160
		.amdhsa_user_sgpr_count 6
		.amdhsa_user_sgpr_private_segment_buffer 1
		.amdhsa_user_sgpr_dispatch_ptr 0
		.amdhsa_user_sgpr_queue_ptr 0
		.amdhsa_user_sgpr_kernarg_segment_ptr 1
		.amdhsa_user_sgpr_dispatch_id 0
		.amdhsa_user_sgpr_flat_scratch_init 0
		.amdhsa_user_sgpr_private_segment_size 0
		.amdhsa_wavefront_size32 1
		.amdhsa_uses_dynamic_stack 0
		.amdhsa_system_sgpr_private_segment_wavefront_offset 0
		.amdhsa_system_sgpr_workgroup_id_x 1
		.amdhsa_system_sgpr_workgroup_id_y 0
		.amdhsa_system_sgpr_workgroup_id_z 0
		.amdhsa_system_sgpr_workgroup_info 0
		.amdhsa_system_vgpr_workitem_id 0
		.amdhsa_next_free_vgpr 31
		.amdhsa_next_free_sgpr 53
		.amdhsa_reserve_vcc 1
		.amdhsa_reserve_flat_scratch 0
		.amdhsa_float_round_mode_32 0
		.amdhsa_float_round_mode_16_64 0
		.amdhsa_float_denorm_mode_32 3
		.amdhsa_float_denorm_mode_16_64 3
		.amdhsa_dx10_clamp 1
		.amdhsa_ieee_mode 1
		.amdhsa_fp16_overflow 0
		.amdhsa_workgroup_processor_mode 1
		.amdhsa_memory_ordered 1
		.amdhsa_forward_progress 1
		.amdhsa_shared_vgpr_count 0
		.amdhsa_exception_fp_ieee_invalid_op 0
		.amdhsa_exception_fp_denorm_src 0
		.amdhsa_exception_fp_ieee_div_zero 0
		.amdhsa_exception_fp_ieee_overflow 0
		.amdhsa_exception_fp_ieee_underflow 0
		.amdhsa_exception_fp_ieee_inexact 0
		.amdhsa_exception_int_div_zero 0
	.end_amdhsa_kernel
	.section	.text._ZN9rocsparseL17kernel_correctionILi1024ELi64E21rocsparse_complex_numIfEiiEEvT3_T2_PKS4_S6_PKS3_PKT1_21rocsparse_index_base_S6_S6_S8_SB_PS9_SC_S6_S6_S8_SB_SD_SC_SB_SD_,"axG",@progbits,_ZN9rocsparseL17kernel_correctionILi1024ELi64E21rocsparse_complex_numIfEiiEEvT3_T2_PKS4_S6_PKS3_PKT1_21rocsparse_index_base_S6_S6_S8_SB_PS9_SC_S6_S6_S8_SB_SD_SC_SB_SD_,comdat
.Lfunc_end34:
	.size	_ZN9rocsparseL17kernel_correctionILi1024ELi64E21rocsparse_complex_numIfEiiEEvT3_T2_PKS4_S6_PKS3_PKT1_21rocsparse_index_base_S6_S6_S8_SB_PS9_SC_S6_S6_S8_SB_SD_SC_SB_SD_, .Lfunc_end34-_ZN9rocsparseL17kernel_correctionILi1024ELi64E21rocsparse_complex_numIfEiiEEvT3_T2_PKS4_S6_PKS3_PKT1_21rocsparse_index_base_S6_S6_S8_SB_PS9_SC_S6_S6_S8_SB_SD_SC_SB_SD_
                                        ; -- End function
	.set _ZN9rocsparseL17kernel_correctionILi1024ELi64E21rocsparse_complex_numIfEiiEEvT3_T2_PKS4_S6_PKS3_PKT1_21rocsparse_index_base_S6_S6_S8_SB_PS9_SC_S6_S6_S8_SB_SD_SC_SB_SD_.num_vgpr, 31
	.set _ZN9rocsparseL17kernel_correctionILi1024ELi64E21rocsparse_complex_numIfEiiEEvT3_T2_PKS4_S6_PKS3_PKT1_21rocsparse_index_base_S6_S6_S8_SB_PS9_SC_S6_S6_S8_SB_SD_SC_SB_SD_.num_agpr, 0
	.set _ZN9rocsparseL17kernel_correctionILi1024ELi64E21rocsparse_complex_numIfEiiEEvT3_T2_PKS4_S6_PKS3_PKT1_21rocsparse_index_base_S6_S6_S8_SB_PS9_SC_S6_S6_S8_SB_SD_SC_SB_SD_.numbered_sgpr, 53
	.set _ZN9rocsparseL17kernel_correctionILi1024ELi64E21rocsparse_complex_numIfEiiEEvT3_T2_PKS4_S6_PKS3_PKT1_21rocsparse_index_base_S6_S6_S8_SB_PS9_SC_S6_S6_S8_SB_SD_SC_SB_SD_.num_named_barrier, 0
	.set _ZN9rocsparseL17kernel_correctionILi1024ELi64E21rocsparse_complex_numIfEiiEEvT3_T2_PKS4_S6_PKS3_PKT1_21rocsparse_index_base_S6_S6_S8_SB_PS9_SC_S6_S6_S8_SB_SD_SC_SB_SD_.private_seg_size, 0
	.set _ZN9rocsparseL17kernel_correctionILi1024ELi64E21rocsparse_complex_numIfEiiEEvT3_T2_PKS4_S6_PKS3_PKT1_21rocsparse_index_base_S6_S6_S8_SB_PS9_SC_S6_S6_S8_SB_SD_SC_SB_SD_.uses_vcc, 1
	.set _ZN9rocsparseL17kernel_correctionILi1024ELi64E21rocsparse_complex_numIfEiiEEvT3_T2_PKS4_S6_PKS3_PKT1_21rocsparse_index_base_S6_S6_S8_SB_PS9_SC_S6_S6_S8_SB_SD_SC_SB_SD_.uses_flat_scratch, 0
	.set _ZN9rocsparseL17kernel_correctionILi1024ELi64E21rocsparse_complex_numIfEiiEEvT3_T2_PKS4_S6_PKS3_PKT1_21rocsparse_index_base_S6_S6_S8_SB_PS9_SC_S6_S6_S8_SB_SD_SC_SB_SD_.has_dyn_sized_stack, 0
	.set _ZN9rocsparseL17kernel_correctionILi1024ELi64E21rocsparse_complex_numIfEiiEEvT3_T2_PKS4_S6_PKS3_PKT1_21rocsparse_index_base_S6_S6_S8_SB_PS9_SC_S6_S6_S8_SB_SD_SC_SB_SD_.has_recursion, 0
	.set _ZN9rocsparseL17kernel_correctionILi1024ELi64E21rocsparse_complex_numIfEiiEEvT3_T2_PKS4_S6_PKS3_PKT1_21rocsparse_index_base_S6_S6_S8_SB_PS9_SC_S6_S6_S8_SB_SD_SC_SB_SD_.has_indirect_call, 0
	.section	.AMDGPU.csdata,"",@progbits
; Kernel info:
; codeLenInByte = 2428
; TotalNumSgprs: 55
; NumVgprs: 31
; ScratchSize: 0
; MemoryBound: 0
; FloatMode: 240
; IeeeMode: 1
; LDSByteSize: 0 bytes/workgroup (compile time only)
; SGPRBlocks: 0
; VGPRBlocks: 3
; NumSGPRsForWavesPerEU: 55
; NumVGPRsForWavesPerEU: 31
; Occupancy: 16
; WaveLimiterHint : 1
; COMPUTE_PGM_RSRC2:SCRATCH_EN: 0
; COMPUTE_PGM_RSRC2:USER_SGPR: 6
; COMPUTE_PGM_RSRC2:TRAP_HANDLER: 0
; COMPUTE_PGM_RSRC2:TGID_X_EN: 1
; COMPUTE_PGM_RSRC2:TGID_Y_EN: 0
; COMPUTE_PGM_RSRC2:TGID_Z_EN: 0
; COMPUTE_PGM_RSRC2:TIDIG_COMP_CNT: 0
	.section	.text._ZN9rocsparseL19kernel_nrm_residualILi1024ELi1E21rocsparse_complex_numIfEiiEEvT3_T2_PKS4_S6_PKS3_PKT1_21rocsparse_index_base_S6_S6_S8_SB_SC_S6_S6_S8_SB_SC_SB_PNS_15floating_traitsIS9_E6data_tEPKSF_,"axG",@progbits,_ZN9rocsparseL19kernel_nrm_residualILi1024ELi1E21rocsparse_complex_numIfEiiEEvT3_T2_PKS4_S6_PKS3_PKT1_21rocsparse_index_base_S6_S6_S8_SB_SC_S6_S6_S8_SB_SC_SB_PNS_15floating_traitsIS9_E6data_tEPKSF_,comdat
	.globl	_ZN9rocsparseL19kernel_nrm_residualILi1024ELi1E21rocsparse_complex_numIfEiiEEvT3_T2_PKS4_S6_PKS3_PKT1_21rocsparse_index_base_S6_S6_S8_SB_SC_S6_S6_S8_SB_SC_SB_PNS_15floating_traitsIS9_E6data_tEPKSF_ ; -- Begin function _ZN9rocsparseL19kernel_nrm_residualILi1024ELi1E21rocsparse_complex_numIfEiiEEvT3_T2_PKS4_S6_PKS3_PKT1_21rocsparse_index_base_S6_S6_S8_SB_SC_S6_S6_S8_SB_SC_SB_PNS_15floating_traitsIS9_E6data_tEPKSF_
	.p2align	8
	.type	_ZN9rocsparseL19kernel_nrm_residualILi1024ELi1E21rocsparse_complex_numIfEiiEEvT3_T2_PKS4_S6_PKS3_PKT1_21rocsparse_index_base_S6_S6_S8_SB_SC_S6_S6_S8_SB_SC_SB_PNS_15floating_traitsIS9_E6data_tEPKSF_,@function
_ZN9rocsparseL19kernel_nrm_residualILi1024ELi1E21rocsparse_complex_numIfEiiEEvT3_T2_PKS4_S6_PKS3_PKT1_21rocsparse_index_base_S6_S6_S8_SB_SC_S6_S6_S8_SB_SC_SB_PNS_15floating_traitsIS9_E6data_tEPKSF_: ; @_ZN9rocsparseL19kernel_nrm_residualILi1024ELi1E21rocsparse_complex_numIfEiiEEvT3_T2_PKS4_S6_PKS3_PKT1_21rocsparse_index_base_S6_S6_S8_SB_SC_S6_S6_S8_SB_SC_SB_PNS_15floating_traitsIS9_E6data_tEPKSF_
; %bb.0:
	s_load_dword s7, s[4:5], 0x0
	s_lshl_b32 s34, s6, 10
	v_mov_b32_e32 v14, 0
	v_or_b32_e32 v1, s34, v0
	s_mov_b32 s6, exec_lo
	s_waitcnt lgkmcnt(0)
	v_cmpx_gt_i32_e64 s7, v1
	s_cbranch_execz .LBB35_46
; %bb.1:
	v_mov_b32_e32 v14, 0
	s_addk_i32 s34, 0x400
	s_mov_b32 s33, exec_lo
	v_cmpx_gt_u32_e64 s34, v1
	s_cbranch_execz .LBB35_45
; %bb.2:
	s_clause 0x6
	s_load_dwordx8 s[8:15], s[4:5], 0x58
	s_load_dwordx8 s[16:23], s[4:5], 0x30
	;; [unrolled: 1-line block ×3, first 2 shown]
	s_load_dword s35, s[4:5], 0x28
	s_load_dword s36, s[4:5], 0x50
	s_load_dwordx2 s[2:3], s[4:5], 0x80
	s_load_dword s37, s[4:5], 0x78
	v_mov_b32_e32 v3, 0
	v_mov_b32_e32 v14, 0
	s_mov_b32 s38, 0
	s_branch .LBB35_6
.LBB35_3:                               ;   in Loop: Header=BB35_6 Depth=1
	s_or_b32 exec_lo, exec_lo, s41
.LBB35_4:                               ;   in Loop: Header=BB35_6 Depth=1
	s_or_b32 exec_lo, exec_lo, s40
.LBB35_5:                               ;   in Loop: Header=BB35_6 Depth=1
	s_or_b32 exec_lo, exec_lo, s39
	v_add_nc_u32_e32 v1, 0x400, v1
	v_cmp_le_u32_e32 vcc_lo, s34, v1
	s_or_b32 s38, vcc_lo, s38
	s_andn2_b32 exec_lo, exec_lo, s38
	s_cbranch_execz .LBB35_44
.LBB35_6:                               ; =>This Loop Header: Depth=1
                                        ;     Child Loop BB35_10 Depth 2
                                        ;       Child Loop BB35_14 Depth 3
                                        ;       Child Loop BB35_31 Depth 3
	;; [unrolled: 1-line block ×3, first 2 shown]
	s_mov_b32 s39, exec_lo
	v_cmpx_gt_i32_e64 s7, v1
	s_cbranch_execz .LBB35_5
; %bb.7:                                ;   in Loop: Header=BB35_6 Depth=1
	v_ashrrev_i32_e32 v2, 31, v1
	s_mov_b32 s40, exec_lo
	v_lshlrev_b64 v[4:5], 2, v[1:2]
	s_waitcnt lgkmcnt(0)
	v_add_co_u32 v6, vcc_lo, s24, v4
	v_add_co_ci_u32_e64 v7, null, s25, v5, vcc_lo
	v_add_co_u32 v8, vcc_lo, s26, v4
	v_add_co_ci_u32_e64 v9, null, s27, v5, vcc_lo
	global_load_dword v2, v[6:7], off
	global_load_dword v6, v[8:9], off
	s_waitcnt vmcnt(0)
	v_cmpx_lt_i32_e64 v2, v6
	s_cbranch_execz .LBB35_4
; %bb.8:                                ;   in Loop: Header=BB35_6 Depth=1
	v_add_co_u32 v7, vcc_lo, s16, v4
	v_add_co_ci_u32_e64 v8, null, s17, v5, vcc_lo
	v_add_co_u32 v4, vcc_lo, s18, v4
	v_add_co_ci_u32_e64 v5, null, s19, v5, vcc_lo
	global_load_dword v9, v[7:8], off
	v_subrev_nc_u32_e32 v15, s35, v6
	v_subrev_nc_u32_e32 v6, s35, v2
	global_load_dword v10, v[4:5], off
	s_mov_b32 s41, 0
	s_waitcnt vmcnt(1)
	v_subrev_nc_u32_e32 v4, s36, v9
	s_waitcnt vmcnt(0)
	v_sub_nc_u32_e32 v16, v10, v9
	v_ashrrev_i32_e32 v5, 31, v4
	v_cmp_lt_i32_e64 s0, 0, v16
	v_lshlrev_b64 v[7:8], 2, v[4:5]
	v_lshlrev_b64 v[9:10], 3, v[4:5]
	v_add_co_u32 v5, vcc_lo, s20, v7
	v_add_co_ci_u32_e64 v17, null, s21, v8, vcc_lo
	v_add_co_u32 v18, vcc_lo, s22, v9
	v_add_co_ci_u32_e64 v19, null, s23, v10, vcc_lo
	s_branch .LBB35_10
.LBB35_9:                               ;   in Loop: Header=BB35_10 Depth=2
	s_or_b32 exec_lo, exec_lo, s42
	v_add_nc_u32_e32 v6, 1, v6
	v_cmp_nlg_f32_e64 s42, 0x7f800000, |v8|
	v_cmp_gt_f32_e32 vcc_lo, v14, v8
	v_cmp_ge_i32_e64 s1, v6, v15
	s_or_b32 vcc_lo, s42, vcc_lo
	v_cndmask_b32_e32 v14, v8, v14, vcc_lo
	s_or_b32 s41, s1, s41
	s_andn2_b32 exec_lo, exec_lo, s41
	s_cbranch_execz .LBB35_3
.LBB35_10:                              ;   Parent Loop BB35_6 Depth=1
                                        ; =>  This Loop Header: Depth=2
                                        ;       Child Loop BB35_14 Depth 3
                                        ;       Child Loop BB35_31 Depth 3
	;; [unrolled: 1-line block ×3, first 2 shown]
	v_ashrrev_i32_e32 v7, 31, v6
	v_mov_b32_e32 v20, 0
	v_mov_b32_e32 v21, 0
	v_lshlrev_b64 v[8:9], 2, v[6:7]
	v_add_co_u32 v8, vcc_lo, s28, v8
	v_add_co_ci_u32_e64 v9, null, s29, v9, vcc_lo
	global_load_dword v2, v[8:9], off
	s_waitcnt vmcnt(0)
	v_subrev_nc_u32_e32 v8, s35, v2
	v_mov_b32_e32 v2, 0
	v_ashrrev_i32_e32 v9, 31, v8
	v_lshlrev_b64 v[10:11], 2, v[8:9]
	v_add_co_u32 v12, vcc_lo, s8, v10
	v_add_co_ci_u32_e64 v13, null, s9, v11, vcc_lo
	v_add_co_u32 v10, vcc_lo, s10, v10
	v_add_co_ci_u32_e64 v11, null, s11, v11, vcc_lo
	global_load_dword v12, v[12:13], off
	global_load_dword v11, v[10:11], off
	s_waitcnt vmcnt(1)
	v_subrev_nc_u32_e32 v10, s37, v12
	s_waitcnt vmcnt(0)
	v_sub_nc_u32_e32 v22, v11, v12
	v_mov_b32_e32 v11, v2
	s_and_saveexec_b32 s42, s0
	s_cbranch_execz .LBB35_18
; %bb.11:                               ;   in Loop: Header=BB35_10 Depth=2
	v_ashrrev_i32_e32 v11, 31, v10
	v_mov_b32_e32 v20, 0
	v_mov_b32_e32 v2, 0
	;; [unrolled: 1-line block ×3, first 2 shown]
	s_mov_b32 s43, 0
	v_lshlrev_b64 v[23:24], 2, v[10:11]
	v_lshlrev_b64 v[11:12], 3, v[10:11]
                                        ; implicit-def: $sgpr44
	v_add_co_u32 v13, vcc_lo, s12, v23
	v_add_co_ci_u32_e64 v23, null, s13, v24, vcc_lo
	v_add_co_u32 v24, vcc_lo, s14, v11
	v_add_co_ci_u32_e64 v25, null, s15, v12, vcc_lo
	v_mov_b32_e32 v11, 0
	s_branch .LBB35_14
.LBB35_12:                              ;   in Loop: Header=BB35_14 Depth=3
	s_or_b32 exec_lo, exec_lo, s1
	v_cmp_le_i32_e32 vcc_lo, v26, v27
	v_cmp_ge_i32_e64 s1, v26, v27
	v_add_co_ci_u32_e64 v2, null, 0, v2, vcc_lo
	v_add_co_ci_u32_e64 v11, null, 0, v11, s1
	s_andn2_b32 s1, s44, exec_lo
	v_cmp_ge_i32_e32 vcc_lo, v2, v16
	s_and_b32 s44, vcc_lo, exec_lo
	s_or_b32 s44, s1, s44
.LBB35_13:                              ;   in Loop: Header=BB35_14 Depth=3
	s_or_b32 exec_lo, exec_lo, s45
	s_and_b32 s1, exec_lo, s44
	s_or_b32 s43, s1, s43
	s_andn2_b32 exec_lo, exec_lo, s43
	s_cbranch_execz .LBB35_17
.LBB35_14:                              ;   Parent Loop BB35_6 Depth=1
                                        ;     Parent Loop BB35_10 Depth=2
                                        ; =>    This Inner Loop Header: Depth=3
	s_or_b32 s44, s44, exec_lo
	s_mov_b32 s45, exec_lo
	v_cmpx_lt_i32_e64 v11, v22
	s_cbranch_execz .LBB35_13
; %bb.15:                               ;   in Loop: Header=BB35_14 Depth=3
	v_mov_b32_e32 v12, v3
	v_lshlrev_b64 v[26:27], 2, v[2:3]
	s_mov_b32 s1, exec_lo
	v_lshlrev_b64 v[28:29], 2, v[11:12]
	v_add_co_u32 v26, vcc_lo, v5, v26
	v_add_co_ci_u32_e64 v27, null, v17, v27, vcc_lo
	v_add_co_u32 v28, vcc_lo, v13, v28
	v_add_co_ci_u32_e64 v29, null, v23, v29, vcc_lo
	global_load_dword v26, v[26:27], off
	global_load_dword v27, v[28:29], off
	s_waitcnt vmcnt(1)
	v_subrev_nc_u32_e32 v26, s36, v26
	s_waitcnt vmcnt(0)
	v_subrev_nc_u32_e32 v27, s37, v27
	v_cmpx_eq_u32_e64 v26, v27
	s_cbranch_execz .LBB35_12
; %bb.16:                               ;   in Loop: Header=BB35_14 Depth=3
	v_lshlrev_b64 v[28:29], 3, v[2:3]
	v_lshlrev_b64 v[30:31], 3, v[11:12]
	v_add_co_u32 v28, vcc_lo, v18, v28
	v_add_co_ci_u32_e64 v29, null, v19, v29, vcc_lo
	v_add_co_u32 v30, vcc_lo, v24, v30
	v_add_co_ci_u32_e64 v31, null, v25, v31, vcc_lo
	global_load_dwordx2 v[28:29], v[28:29], off
	global_load_dwordx2 v[30:31], v[30:31], off
	s_waitcnt vmcnt(0)
	v_fmac_f32_e32 v20, v28, v30
	v_fmac_f32_e32 v21, v29, v30
	v_fma_f32 v20, -v29, v31, v20
	v_fmac_f32_e32 v21, v28, v31
	s_branch .LBB35_12
.LBB35_17:                              ;   in Loop: Header=BB35_10 Depth=2
	s_or_b32 exec_lo, exec_lo, s43
.LBB35_18:                              ;   in Loop: Header=BB35_10 Depth=2
	s_or_b32 exec_lo, exec_lo, s42
	s_mov_b32 s1, exec_lo
	v_cmpx_ge_i32_e64 v11, v22
	s_xor_b32 s1, exec_lo, s1
	s_cbranch_execnz .LBB35_28
; %bb.19:                               ;   in Loop: Header=BB35_10 Depth=2
	s_andn2_saveexec_b32 s1, s1
	s_cbranch_execnz .LBB35_37
.LBB35_20:                              ;   in Loop: Header=BB35_10 Depth=2
	s_or_b32 exec_lo, exec_lo, s1
	s_mov_b32 s1, exec_lo
	v_cmpx_eq_u32_e64 v1, v8
	s_cbranch_execz .LBB35_22
.LBB35_21:                              ;   in Loop: Header=BB35_10 Depth=2
	v_lshlrev_b64 v[8:9], 3, v[8:9]
	v_add_co_u32 v8, vcc_lo, s2, v8
	v_add_co_ci_u32_e64 v9, null, s3, v9, vcc_lo
	global_load_dwordx2 v[8:9], v[8:9], off
	s_waitcnt vmcnt(0)
	v_add_f32_e32 v20, v20, v8
	v_add_f32_e32 v21, v21, v9
.LBB35_22:                              ;   in Loop: Header=BB35_10 Depth=2
	s_or_b32 exec_lo, exec_lo, s1
	v_lshlrev_b64 v[7:8], 3, v[6:7]
	s_mov_b32 s1, exec_lo
	v_add_co_u32 v7, vcc_lo, s30, v7
	v_add_co_ci_u32_e64 v8, null, s31, v8, vcc_lo
	global_load_dwordx2 v[7:8], v[7:8], off
	s_waitcnt vmcnt(0)
	v_sub_f32_e32 v2, v7, v20
	v_sub_f32_e32 v9, v8, v21
                                        ; implicit-def: $vgpr8
	v_cmp_gt_f32_e32 vcc_lo, 0, v2
	v_cndmask_b32_e64 v2, v2, -v2, vcc_lo
	v_cmp_gt_f32_e32 vcc_lo, 0, v9
	v_cndmask_b32_e64 v7, v9, -v9, vcc_lo
	v_cmpx_ngt_f32_e32 v2, v7
	s_xor_b32 s42, exec_lo, s1
	s_cbranch_execz .LBB35_26
; %bb.23:                               ;   in Loop: Header=BB35_10 Depth=2
	v_mov_b32_e32 v8, 0
	s_mov_b32 s43, exec_lo
	v_cmpx_neq_f32_e32 0, v9
	s_cbranch_execz .LBB35_25
; %bb.24:                               ;   in Loop: Header=BB35_10 Depth=2
	v_div_scale_f32 v8, null, v7, v7, v2
	v_div_scale_f32 v11, vcc_lo, v2, v7, v2
	v_rcp_f32_e32 v9, v8
	v_fma_f32 v10, -v8, v9, 1.0
	v_fmac_f32_e32 v9, v10, v9
	v_mul_f32_e32 v10, v11, v9
	v_fma_f32 v12, -v8, v10, v11
	v_fmac_f32_e32 v10, v12, v9
	v_fma_f32 v8, -v8, v10, v11
	v_div_fmas_f32 v8, v8, v9, v10
	v_div_fixup_f32 v2, v8, v7, v2
	v_fma_f32 v2, v2, v2, 1.0
	v_mul_f32_e32 v8, 0x4f800000, v2
	v_cmp_gt_f32_e32 vcc_lo, 0xf800000, v2
	v_cndmask_b32_e32 v2, v2, v8, vcc_lo
	v_sqrt_f32_e32 v8, v2
	v_add_nc_u32_e32 v9, -1, v8
	v_add_nc_u32_e32 v10, 1, v8
	v_fma_f32 v11, -v9, v8, v2
	v_fma_f32 v12, -v10, v8, v2
	v_cmp_ge_f32_e64 s1, 0, v11
	v_cndmask_b32_e64 v8, v8, v9, s1
	v_cmp_lt_f32_e64 s1, 0, v12
	v_cndmask_b32_e64 v8, v8, v10, s1
	v_mul_f32_e32 v9, 0x37800000, v8
	v_cndmask_b32_e32 v8, v8, v9, vcc_lo
	v_cmp_class_f32_e64 vcc_lo, v2, 0x260
	v_cndmask_b32_e32 v2, v8, v2, vcc_lo
	v_mul_f32_e32 v8, v7, v2
.LBB35_25:                              ;   in Loop: Header=BB35_10 Depth=2
	s_or_b32 exec_lo, exec_lo, s43
                                        ; implicit-def: $vgpr2
                                        ; implicit-def: $vgpr7
.LBB35_26:                              ;   in Loop: Header=BB35_10 Depth=2
	s_andn2_saveexec_b32 s42, s42
	s_cbranch_execz .LBB35_9
; %bb.27:                               ;   in Loop: Header=BB35_10 Depth=2
	v_div_scale_f32 v8, null, v2, v2, v7
	v_div_scale_f32 v11, vcc_lo, v7, v2, v7
	v_rcp_f32_e32 v9, v8
	v_fma_f32 v10, -v8, v9, 1.0
	v_fmac_f32_e32 v9, v10, v9
	v_mul_f32_e32 v10, v11, v9
	v_fma_f32 v12, -v8, v10, v11
	v_fmac_f32_e32 v10, v12, v9
	v_fma_f32 v8, -v8, v10, v11
	v_div_fmas_f32 v8, v8, v9, v10
	v_div_fixup_f32 v7, v8, v2, v7
	v_fma_f32 v7, v7, v7, 1.0
	v_mul_f32_e32 v8, 0x4f800000, v7
	v_cmp_gt_f32_e32 vcc_lo, 0xf800000, v7
	v_cndmask_b32_e32 v7, v7, v8, vcc_lo
	v_sqrt_f32_e32 v8, v7
	v_add_nc_u32_e32 v9, -1, v8
	v_add_nc_u32_e32 v10, 1, v8
	v_fma_f32 v11, -v9, v8, v7
	v_fma_f32 v12, -v10, v8, v7
	v_cmp_ge_f32_e64 s1, 0, v11
	v_cndmask_b32_e64 v8, v8, v9, s1
	v_cmp_lt_f32_e64 s1, 0, v12
	v_cndmask_b32_e64 v8, v8, v10, s1
	v_mul_f32_e32 v9, 0x37800000, v8
	v_cndmask_b32_e32 v8, v8, v9, vcc_lo
	v_cmp_class_f32_e64 vcc_lo, v7, 0x260
	v_cndmask_b32_e32 v7, v8, v7, vcc_lo
	v_mul_f32_e32 v8, v2, v7
	s_branch .LBB35_9
.LBB35_28:                              ;   in Loop: Header=BB35_10 Depth=2
	s_mov_b32 s42, exec_lo
	v_cmpx_lt_i32_e64 v2, v16
	s_cbranch_execz .LBB35_36
; %bb.29:                               ;   in Loop: Header=BB35_10 Depth=2
	s_mov_b32 s44, 0
                                        ; implicit-def: $sgpr43
                                        ; implicit-def: $sgpr46
                                        ; implicit-def: $sgpr45
	s_inst_prefetch 0x1
	s_branch .LBB35_31
	.p2align	6
.LBB35_30:                              ;   in Loop: Header=BB35_31 Depth=3
	s_or_b32 exec_lo, exec_lo, s47
	s_and_b32 s47, exec_lo, s46
	s_or_b32 s44, s47, s44
	s_andn2_b32 s43, s43, exec_lo
	s_and_b32 s47, s45, exec_lo
	s_or_b32 s43, s43, s47
	s_andn2_b32 exec_lo, exec_lo, s44
	s_cbranch_execz .LBB35_33
.LBB35_31:                              ;   Parent Loop BB35_6 Depth=1
                                        ;     Parent Loop BB35_10 Depth=2
                                        ; =>    This Inner Loop Header: Depth=3
	v_add_nc_u32_e32 v10, v4, v2
	s_or_b32 s45, s45, exec_lo
	s_or_b32 s46, s46, exec_lo
	s_mov_b32 s47, exec_lo
	v_ashrrev_i32_e32 v11, 31, v10
	v_lshlrev_b64 v[12:13], 2, v[10:11]
	v_add_co_u32 v12, vcc_lo, s20, v12
	v_add_co_ci_u32_e64 v13, null, s21, v13, vcc_lo
	global_load_dword v12, v[12:13], off
	s_waitcnt vmcnt(0)
	v_subrev_nc_u32_e32 v12, s36, v12
	v_cmpx_ne_u32_e64 v12, v8
	s_cbranch_execz .LBB35_30
; %bb.32:                               ;   in Loop: Header=BB35_31 Depth=3
	v_add_nc_u32_e32 v2, 1, v2
	s_andn2_b32 s46, s46, exec_lo
	s_andn2_b32 s45, s45, exec_lo
	v_cmp_ge_i32_e32 vcc_lo, v2, v16
	s_and_b32 s48, vcc_lo, exec_lo
	s_or_b32 s46, s46, s48
	s_branch .LBB35_30
.LBB35_33:                              ;   in Loop: Header=BB35_10 Depth=2
	s_inst_prefetch 0x2
	s_or_b32 exec_lo, exec_lo, s44
	s_and_saveexec_b32 s44, s43
	s_xor_b32 s43, exec_lo, s44
	s_cbranch_execz .LBB35_35
; %bb.34:                               ;   in Loop: Header=BB35_10 Depth=2
	v_lshlrev_b64 v[10:11], 3, v[10:11]
	v_lshlrev_b64 v[12:13], 3, v[8:9]
	v_add_co_u32 v10, vcc_lo, s22, v10
	v_add_co_ci_u32_e64 v11, null, s23, v11, vcc_lo
	v_add_co_u32 v12, vcc_lo, s2, v12
	v_add_co_ci_u32_e64 v13, null, s3, v13, vcc_lo
	global_load_dwordx2 v[10:11], v[10:11], off
	global_load_dwordx2 v[12:13], v[12:13], off
	s_waitcnt vmcnt(0)
	v_mul_f32_e64 v2, v13, -v11
	v_mul_f32_e32 v13, v13, v10
	v_fmac_f32_e32 v2, v10, v12
	v_fmac_f32_e32 v13, v11, v12
	v_add_f32_e32 v20, v20, v2
	v_add_f32_e32 v21, v21, v13
.LBB35_35:                              ;   in Loop: Header=BB35_10 Depth=2
	s_or_b32 exec_lo, exec_lo, s43
.LBB35_36:                              ;   in Loop: Header=BB35_10 Depth=2
	s_or_b32 exec_lo, exec_lo, s42
                                        ; implicit-def: $vgpr11
                                        ; implicit-def: $vgpr10
                                        ; implicit-def: $vgpr22
	s_andn2_saveexec_b32 s1, s1
	s_cbranch_execz .LBB35_20
.LBB35_37:                              ;   in Loop: Header=BB35_10 Depth=2
	s_mov_b32 s43, 0
                                        ; implicit-def: $sgpr42
                                        ; implicit-def: $sgpr45
                                        ; implicit-def: $sgpr44
	s_inst_prefetch 0x1
	s_branch .LBB35_39
	.p2align	6
.LBB35_38:                              ;   in Loop: Header=BB35_39 Depth=3
	s_or_b32 exec_lo, exec_lo, s46
	s_and_b32 s46, exec_lo, s45
	s_or_b32 s43, s46, s43
	s_andn2_b32 s42, s42, exec_lo
	s_and_b32 s46, s44, exec_lo
	s_or_b32 s42, s42, s46
	s_andn2_b32 exec_lo, exec_lo, s43
	s_cbranch_execz .LBB35_41
.LBB35_39:                              ;   Parent Loop BB35_6 Depth=1
                                        ;     Parent Loop BB35_10 Depth=2
                                        ; =>    This Inner Loop Header: Depth=3
	v_add_nc_u32_e32 v12, v10, v11
	s_or_b32 s44, s44, exec_lo
	s_or_b32 s45, s45, exec_lo
	s_mov_b32 s46, exec_lo
	v_ashrrev_i32_e32 v13, 31, v12
	v_lshlrev_b64 v[23:24], 2, v[12:13]
	v_add_co_u32 v23, vcc_lo, s12, v23
	v_add_co_ci_u32_e64 v24, null, s13, v24, vcc_lo
	global_load_dword v2, v[23:24], off
	s_waitcnt vmcnt(0)
	v_subrev_nc_u32_e32 v2, s37, v2
	v_cmpx_ne_u32_e64 v2, v1
	s_cbranch_execz .LBB35_38
; %bb.40:                               ;   in Loop: Header=BB35_39 Depth=3
	v_add_nc_u32_e32 v11, 1, v11
	s_andn2_b32 s45, s45, exec_lo
	s_andn2_b32 s44, s44, exec_lo
	v_cmp_ge_i32_e32 vcc_lo, v11, v22
	s_and_b32 s47, vcc_lo, exec_lo
	s_or_b32 s45, s45, s47
	s_branch .LBB35_38
.LBB35_41:                              ;   in Loop: Header=BB35_10 Depth=2
	s_inst_prefetch 0x2
	s_or_b32 exec_lo, exec_lo, s43
	s_and_saveexec_b32 s43, s42
	s_xor_b32 s42, exec_lo, s43
	s_cbranch_execz .LBB35_43
; %bb.42:                               ;   in Loop: Header=BB35_10 Depth=2
	v_lshlrev_b64 v[10:11], 3, v[12:13]
	v_add_co_u32 v10, vcc_lo, s14, v10
	v_add_co_ci_u32_e64 v11, null, s15, v11, vcc_lo
	global_load_dwordx2 v[10:11], v[10:11], off
	s_waitcnt vmcnt(0)
	v_add_f32_e32 v20, v20, v10
	v_add_f32_e32 v21, v21, v11
.LBB35_43:                              ;   in Loop: Header=BB35_10 Depth=2
	s_or_b32 exec_lo, exec_lo, s42
	s_or_b32 exec_lo, exec_lo, s1
	s_mov_b32 s1, exec_lo
	v_cmpx_eq_u32_e64 v1, v8
	s_cbranch_execnz .LBB35_21
	s_branch .LBB35_22
.LBB35_44:
	s_or_b32 exec_lo, exec_lo, s38
.LBB35_45:
	s_or_b32 exec_lo, exec_lo, s33
.LBB35_46:
	s_or_b32 exec_lo, exec_lo, s6
	v_lshlrev_b32_e32 v1, 2, v0
	s_mov_b32 s0, exec_lo
	ds_write_b32 v1, v14
	s_waitcnt lgkmcnt(0)
	s_barrier
	buffer_gl0_inv
	v_cmpx_gt_u32_e32 0x200, v0
	s_cbranch_execz .LBB35_48
; %bb.47:
	ds_read2st64_b32 v[2:3], v1 offset1:8
	s_waitcnt lgkmcnt(0)
	v_cmp_lt_f32_e32 vcc_lo, v2, v3
	v_cndmask_b32_e32 v2, v2, v3, vcc_lo
	ds_write_b32 v1, v2
.LBB35_48:
	s_or_b32 exec_lo, exec_lo, s0
	s_mov_b32 s0, exec_lo
	s_waitcnt lgkmcnt(0)
	s_barrier
	buffer_gl0_inv
	v_cmpx_gt_u32_e32 0x100, v0
	s_cbranch_execz .LBB35_50
; %bb.49:
	ds_read2st64_b32 v[2:3], v1 offset1:4
	s_waitcnt lgkmcnt(0)
	v_cmp_lt_f32_e32 vcc_lo, v2, v3
	v_cndmask_b32_e32 v2, v2, v3, vcc_lo
	ds_write_b32 v1, v2
.LBB35_50:
	s_or_b32 exec_lo, exec_lo, s0
	s_mov_b32 s0, exec_lo
	;; [unrolled: 14-line block ×4, first 2 shown]
	s_waitcnt lgkmcnt(0)
	s_barrier
	buffer_gl0_inv
	v_cmpx_gt_u32_e32 32, v0
	s_cbranch_execz .LBB35_56
; %bb.55:
	ds_read2_b32 v[2:3], v1 offset1:32
	s_waitcnt lgkmcnt(0)
	v_cmp_lt_f32_e32 vcc_lo, v2, v3
	v_cndmask_b32_e32 v2, v2, v3, vcc_lo
	ds_write_b32 v1, v2
.LBB35_56:
	s_or_b32 exec_lo, exec_lo, s0
	s_mov_b32 s0, exec_lo
	s_waitcnt lgkmcnt(0)
	s_barrier
	buffer_gl0_inv
	v_cmpx_gt_u32_e32 16, v0
	s_cbranch_execz .LBB35_58
; %bb.57:
	ds_read2_b32 v[2:3], v1 offset1:16
	s_waitcnt lgkmcnt(0)
	v_cmp_lt_f32_e32 vcc_lo, v2, v3
	v_cndmask_b32_e32 v2, v2, v3, vcc_lo
	ds_write_b32 v1, v2
.LBB35_58:
	s_or_b32 exec_lo, exec_lo, s0
	s_mov_b32 s0, exec_lo
	;; [unrolled: 14-line block ×4, first 2 shown]
	s_waitcnt lgkmcnt(0)
	s_barrier
	buffer_gl0_inv
	v_cmpx_gt_u32_e32 2, v0
	s_cbranch_execz .LBB35_64
; %bb.63:
	ds_read2_b32 v[2:3], v1 offset1:2
	s_waitcnt lgkmcnt(0)
	v_cmp_lt_f32_e32 vcc_lo, v2, v3
	v_cndmask_b32_e32 v2, v2, v3, vcc_lo
	ds_write_b32 v1, v2
.LBB35_64:
	s_or_b32 exec_lo, exec_lo, s0
	v_cmp_eq_u32_e32 vcc_lo, 0, v0
	s_waitcnt lgkmcnt(0)
	s_barrier
	buffer_gl0_inv
	s_and_saveexec_b32 s1, vcc_lo
	s_cbranch_execz .LBB35_66
; %bb.65:
	v_mov_b32_e32 v2, 0
	ds_read_b64 v[0:1], v2
	s_waitcnt lgkmcnt(0)
	v_cmp_lt_f32_e64 s0, v0, v1
	v_cndmask_b32_e64 v0, v0, v1, s0
	ds_write_b32 v2, v0
.LBB35_66:
	s_or_b32 exec_lo, exec_lo, s1
	s_waitcnt lgkmcnt(0)
	s_barrier
	buffer_gl0_inv
	s_and_saveexec_b32 s0, vcc_lo
	s_cbranch_execz .LBB35_70
; %bb.67:
	v_mbcnt_lo_u32_b32 v0, exec_lo, 0
	s_mov_b32 s6, 0
	v_cmp_eq_u32_e32 vcc_lo, 0, v0
	s_and_b32 exec_lo, exec_lo, vcc_lo
	s_cbranch_execz .LBB35_70
; %bb.68:
	s_load_dwordx4 s[0:3], s[4:5], 0x88
	v_mov_b32_e32 v2, 0
	ds_read_b32 v0, v2
	s_waitcnt lgkmcnt(0)
	s_load_dword s2, s[2:3], 0x0
	s_load_dword s3, s[0:1], 0x0
	s_waitcnt lgkmcnt(0)
	v_div_scale_f32 v1, null, s2, s2, v0
	v_rcp_f32_e32 v3, v1
	v_fma_f32 v4, -v1, v3, 1.0
	v_fmac_f32_e32 v3, v4, v3
	v_div_scale_f32 v4, vcc_lo, v0, s2, v0
	v_mul_f32_e32 v5, v4, v3
	v_fma_f32 v6, -v1, v5, v4
	v_fmac_f32_e32 v5, v6, v3
	v_fma_f32 v1, -v1, v5, v4
	v_div_fmas_f32 v1, v1, v3, v5
	v_div_fixup_f32 v0, v1, s2, v0
	v_mov_b32_e32 v1, s3
	v_max_f32_e32 v3, v0, v0
.LBB35_69:                              ; =>This Inner Loop Header: Depth=1
	v_max_f32_e32 v0, v1, v1
	v_max_f32_e32 v0, v0, v3
	global_atomic_cmpswap v0, v2, v[0:1], s[0:1] glc
	s_waitcnt vmcnt(0)
	v_cmp_eq_u32_e32 vcc_lo, v0, v1
	v_mov_b32_e32 v1, v0
	s_or_b32 s6, vcc_lo, s6
	s_andn2_b32 exec_lo, exec_lo, s6
	s_cbranch_execnz .LBB35_69
.LBB35_70:
	s_endpgm
	.section	.rodata,"a",@progbits
	.p2align	6, 0x0
	.amdhsa_kernel _ZN9rocsparseL19kernel_nrm_residualILi1024ELi1E21rocsparse_complex_numIfEiiEEvT3_T2_PKS4_S6_PKS3_PKT1_21rocsparse_index_base_S6_S6_S8_SB_SC_S6_S6_S8_SB_SC_SB_PNS_15floating_traitsIS9_E6data_tEPKSF_
		.amdhsa_group_segment_fixed_size 4096
		.amdhsa_private_segment_fixed_size 0
		.amdhsa_kernarg_size 152
		.amdhsa_user_sgpr_count 6
		.amdhsa_user_sgpr_private_segment_buffer 1
		.amdhsa_user_sgpr_dispatch_ptr 0
		.amdhsa_user_sgpr_queue_ptr 0
		.amdhsa_user_sgpr_kernarg_segment_ptr 1
		.amdhsa_user_sgpr_dispatch_id 0
		.amdhsa_user_sgpr_flat_scratch_init 0
		.amdhsa_user_sgpr_private_segment_size 0
		.amdhsa_wavefront_size32 1
		.amdhsa_uses_dynamic_stack 0
		.amdhsa_system_sgpr_private_segment_wavefront_offset 0
		.amdhsa_system_sgpr_workgroup_id_x 1
		.amdhsa_system_sgpr_workgroup_id_y 0
		.amdhsa_system_sgpr_workgroup_id_z 0
		.amdhsa_system_sgpr_workgroup_info 0
		.amdhsa_system_vgpr_workitem_id 0
		.amdhsa_next_free_vgpr 32
		.amdhsa_next_free_sgpr 49
		.amdhsa_reserve_vcc 1
		.amdhsa_reserve_flat_scratch 0
		.amdhsa_float_round_mode_32 0
		.amdhsa_float_round_mode_16_64 0
		.amdhsa_float_denorm_mode_32 3
		.amdhsa_float_denorm_mode_16_64 3
		.amdhsa_dx10_clamp 1
		.amdhsa_ieee_mode 1
		.amdhsa_fp16_overflow 0
		.amdhsa_workgroup_processor_mode 1
		.amdhsa_memory_ordered 1
		.amdhsa_forward_progress 1
		.amdhsa_shared_vgpr_count 0
		.amdhsa_exception_fp_ieee_invalid_op 0
		.amdhsa_exception_fp_denorm_src 0
		.amdhsa_exception_fp_ieee_div_zero 0
		.amdhsa_exception_fp_ieee_overflow 0
		.amdhsa_exception_fp_ieee_underflow 0
		.amdhsa_exception_fp_ieee_inexact 0
		.amdhsa_exception_int_div_zero 0
	.end_amdhsa_kernel
	.section	.text._ZN9rocsparseL19kernel_nrm_residualILi1024ELi1E21rocsparse_complex_numIfEiiEEvT3_T2_PKS4_S6_PKS3_PKT1_21rocsparse_index_base_S6_S6_S8_SB_SC_S6_S6_S8_SB_SC_SB_PNS_15floating_traitsIS9_E6data_tEPKSF_,"axG",@progbits,_ZN9rocsparseL19kernel_nrm_residualILi1024ELi1E21rocsparse_complex_numIfEiiEEvT3_T2_PKS4_S6_PKS3_PKT1_21rocsparse_index_base_S6_S6_S8_SB_SC_S6_S6_S8_SB_SC_SB_PNS_15floating_traitsIS9_E6data_tEPKSF_,comdat
.Lfunc_end35:
	.size	_ZN9rocsparseL19kernel_nrm_residualILi1024ELi1E21rocsparse_complex_numIfEiiEEvT3_T2_PKS4_S6_PKS3_PKT1_21rocsparse_index_base_S6_S6_S8_SB_SC_S6_S6_S8_SB_SC_SB_PNS_15floating_traitsIS9_E6data_tEPKSF_, .Lfunc_end35-_ZN9rocsparseL19kernel_nrm_residualILi1024ELi1E21rocsparse_complex_numIfEiiEEvT3_T2_PKS4_S6_PKS3_PKT1_21rocsparse_index_base_S6_S6_S8_SB_SC_S6_S6_S8_SB_SC_SB_PNS_15floating_traitsIS9_E6data_tEPKSF_
                                        ; -- End function
	.set _ZN9rocsparseL19kernel_nrm_residualILi1024ELi1E21rocsparse_complex_numIfEiiEEvT3_T2_PKS4_S6_PKS3_PKT1_21rocsparse_index_base_S6_S6_S8_SB_SC_S6_S6_S8_SB_SC_SB_PNS_15floating_traitsIS9_E6data_tEPKSF_.num_vgpr, 32
	.set _ZN9rocsparseL19kernel_nrm_residualILi1024ELi1E21rocsparse_complex_numIfEiiEEvT3_T2_PKS4_S6_PKS3_PKT1_21rocsparse_index_base_S6_S6_S8_SB_SC_S6_S6_S8_SB_SC_SB_PNS_15floating_traitsIS9_E6data_tEPKSF_.num_agpr, 0
	.set _ZN9rocsparseL19kernel_nrm_residualILi1024ELi1E21rocsparse_complex_numIfEiiEEvT3_T2_PKS4_S6_PKS3_PKT1_21rocsparse_index_base_S6_S6_S8_SB_SC_S6_S6_S8_SB_SC_SB_PNS_15floating_traitsIS9_E6data_tEPKSF_.numbered_sgpr, 49
	.set _ZN9rocsparseL19kernel_nrm_residualILi1024ELi1E21rocsparse_complex_numIfEiiEEvT3_T2_PKS4_S6_PKS3_PKT1_21rocsparse_index_base_S6_S6_S8_SB_SC_S6_S6_S8_SB_SC_SB_PNS_15floating_traitsIS9_E6data_tEPKSF_.num_named_barrier, 0
	.set _ZN9rocsparseL19kernel_nrm_residualILi1024ELi1E21rocsparse_complex_numIfEiiEEvT3_T2_PKS4_S6_PKS3_PKT1_21rocsparse_index_base_S6_S6_S8_SB_SC_S6_S6_S8_SB_SC_SB_PNS_15floating_traitsIS9_E6data_tEPKSF_.private_seg_size, 0
	.set _ZN9rocsparseL19kernel_nrm_residualILi1024ELi1E21rocsparse_complex_numIfEiiEEvT3_T2_PKS4_S6_PKS3_PKT1_21rocsparse_index_base_S6_S6_S8_SB_SC_S6_S6_S8_SB_SC_SB_PNS_15floating_traitsIS9_E6data_tEPKSF_.uses_vcc, 1
	.set _ZN9rocsparseL19kernel_nrm_residualILi1024ELi1E21rocsparse_complex_numIfEiiEEvT3_T2_PKS4_S6_PKS3_PKT1_21rocsparse_index_base_S6_S6_S8_SB_SC_S6_S6_S8_SB_SC_SB_PNS_15floating_traitsIS9_E6data_tEPKSF_.uses_flat_scratch, 0
	.set _ZN9rocsparseL19kernel_nrm_residualILi1024ELi1E21rocsparse_complex_numIfEiiEEvT3_T2_PKS4_S6_PKS3_PKT1_21rocsparse_index_base_S6_S6_S8_SB_SC_S6_S6_S8_SB_SC_SB_PNS_15floating_traitsIS9_E6data_tEPKSF_.has_dyn_sized_stack, 0
	.set _ZN9rocsparseL19kernel_nrm_residualILi1024ELi1E21rocsparse_complex_numIfEiiEEvT3_T2_PKS4_S6_PKS3_PKT1_21rocsparse_index_base_S6_S6_S8_SB_SC_S6_S6_S8_SB_SC_SB_PNS_15floating_traitsIS9_E6data_tEPKSF_.has_recursion, 0
	.set _ZN9rocsparseL19kernel_nrm_residualILi1024ELi1E21rocsparse_complex_numIfEiiEEvT3_T2_PKS4_S6_PKS3_PKT1_21rocsparse_index_base_S6_S6_S8_SB_SC_S6_S6_S8_SB_SC_SB_PNS_15floating_traitsIS9_E6data_tEPKSF_.has_indirect_call, 0
	.section	.AMDGPU.csdata,"",@progbits
; Kernel info:
; codeLenInByte = 3008
; TotalNumSgprs: 51
; NumVgprs: 32
; ScratchSize: 0
; MemoryBound: 0
; FloatMode: 240
; IeeeMode: 1
; LDSByteSize: 4096 bytes/workgroup (compile time only)
; SGPRBlocks: 0
; VGPRBlocks: 3
; NumSGPRsForWavesPerEU: 51
; NumVGPRsForWavesPerEU: 32
; Occupancy: 16
; WaveLimiterHint : 1
; COMPUTE_PGM_RSRC2:SCRATCH_EN: 0
; COMPUTE_PGM_RSRC2:USER_SGPR: 6
; COMPUTE_PGM_RSRC2:TRAP_HANDLER: 0
; COMPUTE_PGM_RSRC2:TGID_X_EN: 1
; COMPUTE_PGM_RSRC2:TGID_Y_EN: 0
; COMPUTE_PGM_RSRC2:TGID_Z_EN: 0
; COMPUTE_PGM_RSRC2:TIDIG_COMP_CNT: 0
	.section	.text._ZN9rocsparseL19kernel_nrm_residualILi1024ELi2E21rocsparse_complex_numIfEiiEEvT3_T2_PKS4_S6_PKS3_PKT1_21rocsparse_index_base_S6_S6_S8_SB_SC_S6_S6_S8_SB_SC_SB_PNS_15floating_traitsIS9_E6data_tEPKSF_,"axG",@progbits,_ZN9rocsparseL19kernel_nrm_residualILi1024ELi2E21rocsparse_complex_numIfEiiEEvT3_T2_PKS4_S6_PKS3_PKT1_21rocsparse_index_base_S6_S6_S8_SB_SC_S6_S6_S8_SB_SC_SB_PNS_15floating_traitsIS9_E6data_tEPKSF_,comdat
	.globl	_ZN9rocsparseL19kernel_nrm_residualILi1024ELi2E21rocsparse_complex_numIfEiiEEvT3_T2_PKS4_S6_PKS3_PKT1_21rocsparse_index_base_S6_S6_S8_SB_SC_S6_S6_S8_SB_SC_SB_PNS_15floating_traitsIS9_E6data_tEPKSF_ ; -- Begin function _ZN9rocsparseL19kernel_nrm_residualILi1024ELi2E21rocsparse_complex_numIfEiiEEvT3_T2_PKS4_S6_PKS3_PKT1_21rocsparse_index_base_S6_S6_S8_SB_SC_S6_S6_S8_SB_SC_SB_PNS_15floating_traitsIS9_E6data_tEPKSF_
	.p2align	8
	.type	_ZN9rocsparseL19kernel_nrm_residualILi1024ELi2E21rocsparse_complex_numIfEiiEEvT3_T2_PKS4_S6_PKS3_PKT1_21rocsparse_index_base_S6_S6_S8_SB_SC_S6_S6_S8_SB_SC_SB_PNS_15floating_traitsIS9_E6data_tEPKSF_,@function
_ZN9rocsparseL19kernel_nrm_residualILi1024ELi2E21rocsparse_complex_numIfEiiEEvT3_T2_PKS4_S6_PKS3_PKT1_21rocsparse_index_base_S6_S6_S8_SB_SC_S6_S6_S8_SB_SC_SB_PNS_15floating_traitsIS9_E6data_tEPKSF_: ; @_ZN9rocsparseL19kernel_nrm_residualILi1024ELi2E21rocsparse_complex_numIfEiiEEvT3_T2_PKS4_S6_PKS3_PKT1_21rocsparse_index_base_S6_S6_S8_SB_SC_S6_S6_S8_SB_SC_SB_PNS_15floating_traitsIS9_E6data_tEPKSF_
; %bb.0:
	s_load_dword s7, s[4:5], 0x0
	v_lshrrev_b32_e32 v13, 1, v0
	s_lshl_b32 s34, s6, 10
	v_and_b32_e32 v14, 1, v0
	v_mov_b32_e32 v15, 0
	s_mov_b32 s6, exec_lo
	v_or_b32_e32 v1, s34, v13
	s_waitcnt lgkmcnt(0)
	v_cmpx_gt_i32_e64 s7, v1
	s_cbranch_execz .LBB36_46
; %bb.1:
	v_mov_b32_e32 v15, 0
	s_addk_i32 s34, 0x400
	s_mov_b32 s33, exec_lo
	v_cmpx_gt_u32_e64 s34, v1
	s_cbranch_execz .LBB36_45
; %bb.2:
	s_clause 0x6
	s_load_dword s35, s[4:5], 0x28
	s_load_dwordx8 s[8:15], s[4:5], 0x58
	s_load_dwordx8 s[16:23], s[4:5], 0x30
	;; [unrolled: 1-line block ×3, first 2 shown]
	s_load_dword s36, s[4:5], 0x50
	s_load_dwordx2 s[2:3], s[4:5], 0x80
	s_load_dword s37, s[4:5], 0x78
	v_mov_b32_e32 v3, 0
	v_mov_b32_e32 v15, 0
	s_mov_b32 s38, 0
	s_waitcnt lgkmcnt(0)
	v_subrev_nc_u32_e32 v16, s35, v14
	s_branch .LBB36_6
.LBB36_3:                               ;   in Loop: Header=BB36_6 Depth=1
	s_or_b32 exec_lo, exec_lo, s41
.LBB36_4:                               ;   in Loop: Header=BB36_6 Depth=1
	s_or_b32 exec_lo, exec_lo, s40
.LBB36_5:                               ;   in Loop: Header=BB36_6 Depth=1
	s_or_b32 exec_lo, exec_lo, s39
	v_add_nc_u32_e32 v1, 0x200, v1
	v_cmp_le_u32_e32 vcc_lo, s34, v1
	s_or_b32 s38, vcc_lo, s38
	s_andn2_b32 exec_lo, exec_lo, s38
	s_cbranch_execz .LBB36_44
.LBB36_6:                               ; =>This Loop Header: Depth=1
                                        ;     Child Loop BB36_10 Depth 2
                                        ;       Child Loop BB36_14 Depth 3
                                        ;       Child Loop BB36_31 Depth 3
	;; [unrolled: 1-line block ×3, first 2 shown]
	s_mov_b32 s39, exec_lo
	v_cmpx_gt_i32_e64 s7, v1
	s_cbranch_execz .LBB36_5
; %bb.7:                                ;   in Loop: Header=BB36_6 Depth=1
	v_ashrrev_i32_e32 v2, 31, v1
	s_mov_b32 s40, exec_lo
	v_lshlrev_b64 v[5:6], 2, v[1:2]
	v_add_co_u32 v7, vcc_lo, s24, v5
	v_add_co_ci_u32_e64 v8, null, s25, v6, vcc_lo
	v_add_co_u32 v9, vcc_lo, s26, v5
	v_add_co_ci_u32_e64 v10, null, s27, v6, vcc_lo
	global_load_dword v2, v[7:8], off
	global_load_dword v7, v[9:10], off
	s_waitcnt vmcnt(1)
	v_add_nc_u32_e32 v4, v16, v2
	s_waitcnt vmcnt(0)
	v_subrev_nc_u32_e32 v17, s35, v7
	v_cmpx_lt_i32_e64 v4, v17
	s_cbranch_execz .LBB36_4
; %bb.8:                                ;   in Loop: Header=BB36_6 Depth=1
	v_add_co_u32 v7, vcc_lo, s16, v5
	v_add_co_ci_u32_e64 v8, null, s17, v6, vcc_lo
	v_add_co_u32 v5, vcc_lo, s18, v5
	v_add_co_ci_u32_e64 v6, null, s19, v6, vcc_lo
	global_load_dword v2, v[7:8], off
	s_mov_b32 s41, 0
	global_load_dword v5, v[5:6], off
	s_waitcnt vmcnt(1)
	v_subrev_nc_u32_e32 v6, s36, v2
	s_waitcnt vmcnt(0)
	v_sub_nc_u32_e32 v18, v5, v2
	v_ashrrev_i32_e32 v7, 31, v6
	v_cmp_lt_i32_e64 s0, 0, v18
	v_lshlrev_b64 v[8:9], 2, v[6:7]
	v_lshlrev_b64 v[10:11], 3, v[6:7]
	v_add_co_u32 v19, vcc_lo, s20, v8
	v_add_co_ci_u32_e64 v20, null, s21, v9, vcc_lo
	v_add_co_u32 v21, vcc_lo, s22, v10
	v_add_co_ci_u32_e64 v22, null, s23, v11, vcc_lo
	s_branch .LBB36_10
.LBB36_9:                               ;   in Loop: Header=BB36_10 Depth=2
	s_or_b32 exec_lo, exec_lo, s42
	v_add_nc_u32_e32 v4, 2, v4
	v_cmp_nlg_f32_e64 s42, 0x7f800000, |v7|
	v_cmp_gt_f32_e32 vcc_lo, v15, v7
	v_cmp_ge_i32_e64 s1, v4, v17
	s_or_b32 vcc_lo, s42, vcc_lo
	v_cndmask_b32_e32 v15, v7, v15, vcc_lo
	s_or_b32 s41, s1, s41
	s_andn2_b32 exec_lo, exec_lo, s41
	s_cbranch_execz .LBB36_3
.LBB36_10:                              ;   Parent Loop BB36_6 Depth=1
                                        ; =>  This Loop Header: Depth=2
                                        ;       Child Loop BB36_14 Depth 3
                                        ;       Child Loop BB36_31 Depth 3
                                        ;       Child Loop BB36_39 Depth 3
	v_ashrrev_i32_e32 v5, 31, v4
	v_mov_b32_e32 v23, 0
	v_mov_b32_e32 v24, 0
	v_lshlrev_b64 v[7:8], 2, v[4:5]
	v_add_co_u32 v7, vcc_lo, s28, v7
	v_add_co_ci_u32_e64 v8, null, s29, v8, vcc_lo
	global_load_dword v2, v[7:8], off
	s_waitcnt vmcnt(0)
	v_subrev_nc_u32_e32 v7, s35, v2
	v_mov_b32_e32 v2, 0
	v_ashrrev_i32_e32 v8, 31, v7
	v_lshlrev_b64 v[9:10], 2, v[7:8]
	v_add_co_u32 v11, vcc_lo, s8, v9
	v_add_co_ci_u32_e64 v12, null, s9, v10, vcc_lo
	v_add_co_u32 v9, vcc_lo, s10, v9
	v_add_co_ci_u32_e64 v10, null, s11, v10, vcc_lo
	global_load_dword v11, v[11:12], off
	global_load_dword v10, v[9:10], off
	s_waitcnt vmcnt(1)
	v_subrev_nc_u32_e32 v9, s37, v11
	s_waitcnt vmcnt(0)
	v_sub_nc_u32_e32 v25, v10, v11
	v_mov_b32_e32 v10, v2
	s_and_saveexec_b32 s42, s0
	s_cbranch_execz .LBB36_18
; %bb.11:                               ;   in Loop: Header=BB36_10 Depth=2
	v_ashrrev_i32_e32 v10, 31, v9
	v_mov_b32_e32 v23, 0
	v_mov_b32_e32 v2, 0
	;; [unrolled: 1-line block ×3, first 2 shown]
	s_mov_b32 s43, 0
	v_lshlrev_b64 v[26:27], 2, v[9:10]
	v_lshlrev_b64 v[10:11], 3, v[9:10]
                                        ; implicit-def: $sgpr44
	v_add_co_u32 v12, vcc_lo, s12, v26
	v_add_co_ci_u32_e64 v26, null, s13, v27, vcc_lo
	v_add_co_u32 v27, vcc_lo, s14, v10
	v_add_co_ci_u32_e64 v28, null, s15, v11, vcc_lo
	v_mov_b32_e32 v10, 0
	s_branch .LBB36_14
.LBB36_12:                              ;   in Loop: Header=BB36_14 Depth=3
	s_or_b32 exec_lo, exec_lo, s1
	v_cmp_le_i32_e32 vcc_lo, v29, v30
	v_cmp_ge_i32_e64 s1, v29, v30
	v_add_co_ci_u32_e64 v2, null, 0, v2, vcc_lo
	v_add_co_ci_u32_e64 v10, null, 0, v10, s1
	s_andn2_b32 s1, s44, exec_lo
	v_cmp_ge_i32_e32 vcc_lo, v2, v18
	s_and_b32 s44, vcc_lo, exec_lo
	s_or_b32 s44, s1, s44
.LBB36_13:                              ;   in Loop: Header=BB36_14 Depth=3
	s_or_b32 exec_lo, exec_lo, s45
	s_and_b32 s1, exec_lo, s44
	s_or_b32 s43, s1, s43
	s_andn2_b32 exec_lo, exec_lo, s43
	s_cbranch_execz .LBB36_17
.LBB36_14:                              ;   Parent Loop BB36_6 Depth=1
                                        ;     Parent Loop BB36_10 Depth=2
                                        ; =>    This Inner Loop Header: Depth=3
	s_or_b32 s44, s44, exec_lo
	s_mov_b32 s45, exec_lo
	v_cmpx_lt_i32_e64 v10, v25
	s_cbranch_execz .LBB36_13
; %bb.15:                               ;   in Loop: Header=BB36_14 Depth=3
	v_mov_b32_e32 v11, v3
	v_lshlrev_b64 v[29:30], 2, v[2:3]
	s_mov_b32 s1, exec_lo
	v_lshlrev_b64 v[31:32], 2, v[10:11]
	v_add_co_u32 v29, vcc_lo, v19, v29
	v_add_co_ci_u32_e64 v30, null, v20, v30, vcc_lo
	v_add_co_u32 v31, vcc_lo, v12, v31
	v_add_co_ci_u32_e64 v32, null, v26, v32, vcc_lo
	global_load_dword v29, v[29:30], off
	global_load_dword v30, v[31:32], off
	s_waitcnt vmcnt(1)
	v_subrev_nc_u32_e32 v29, s36, v29
	s_waitcnt vmcnt(0)
	v_subrev_nc_u32_e32 v30, s37, v30
	v_cmpx_eq_u32_e64 v29, v30
	s_cbranch_execz .LBB36_12
; %bb.16:                               ;   in Loop: Header=BB36_14 Depth=3
	v_lshlrev_b64 v[31:32], 3, v[2:3]
	v_lshlrev_b64 v[33:34], 3, v[10:11]
	v_add_co_u32 v31, vcc_lo, v21, v31
	v_add_co_ci_u32_e64 v32, null, v22, v32, vcc_lo
	v_add_co_u32 v33, vcc_lo, v27, v33
	v_add_co_ci_u32_e64 v34, null, v28, v34, vcc_lo
	global_load_dwordx2 v[31:32], v[31:32], off
	global_load_dwordx2 v[33:34], v[33:34], off
	s_waitcnt vmcnt(0)
	v_fmac_f32_e32 v23, v31, v33
	v_fmac_f32_e32 v24, v32, v33
	v_fma_f32 v23, -v32, v34, v23
	v_fmac_f32_e32 v24, v31, v34
	s_branch .LBB36_12
.LBB36_17:                              ;   in Loop: Header=BB36_10 Depth=2
	s_or_b32 exec_lo, exec_lo, s43
.LBB36_18:                              ;   in Loop: Header=BB36_10 Depth=2
	s_or_b32 exec_lo, exec_lo, s42
	s_mov_b32 s1, exec_lo
	v_cmpx_ge_i32_e64 v10, v25
	s_xor_b32 s1, exec_lo, s1
	s_cbranch_execnz .LBB36_28
; %bb.19:                               ;   in Loop: Header=BB36_10 Depth=2
	s_andn2_saveexec_b32 s1, s1
	s_cbranch_execnz .LBB36_37
.LBB36_20:                              ;   in Loop: Header=BB36_10 Depth=2
	s_or_b32 exec_lo, exec_lo, s1
	s_mov_b32 s1, exec_lo
	v_cmpx_eq_u32_e64 v1, v7
	s_cbranch_execz .LBB36_22
.LBB36_21:                              ;   in Loop: Header=BB36_10 Depth=2
	v_lshlrev_b64 v[7:8], 3, v[7:8]
	v_add_co_u32 v7, vcc_lo, s2, v7
	v_add_co_ci_u32_e64 v8, null, s3, v8, vcc_lo
	global_load_dwordx2 v[7:8], v[7:8], off
	s_waitcnt vmcnt(0)
	v_add_f32_e32 v23, v23, v7
	v_add_f32_e32 v24, v24, v8
.LBB36_22:                              ;   in Loop: Header=BB36_10 Depth=2
	s_or_b32 exec_lo, exec_lo, s1
	v_lshlrev_b64 v[7:8], 3, v[4:5]
	s_mov_b32 s1, exec_lo
	v_add_co_u32 v7, vcc_lo, s30, v7
	v_add_co_ci_u32_e64 v8, null, s31, v8, vcc_lo
	global_load_dwordx2 v[7:8], v[7:8], off
	s_waitcnt vmcnt(0)
	v_sub_f32_e32 v2, v7, v23
	v_sub_f32_e32 v8, v8, v24
                                        ; implicit-def: $vgpr7
	v_cmp_gt_f32_e32 vcc_lo, 0, v2
	v_cndmask_b32_e64 v2, v2, -v2, vcc_lo
	v_cmp_gt_f32_e32 vcc_lo, 0, v8
	v_cndmask_b32_e64 v5, v8, -v8, vcc_lo
	v_cmpx_ngt_f32_e32 v2, v5
	s_xor_b32 s42, exec_lo, s1
	s_cbranch_execz .LBB36_26
; %bb.23:                               ;   in Loop: Header=BB36_10 Depth=2
	v_mov_b32_e32 v7, 0
	s_mov_b32 s43, exec_lo
	v_cmpx_neq_f32_e32 0, v8
	s_cbranch_execz .LBB36_25
; %bb.24:                               ;   in Loop: Header=BB36_10 Depth=2
	v_div_scale_f32 v7, null, v5, v5, v2
	v_div_scale_f32 v10, vcc_lo, v2, v5, v2
	v_rcp_f32_e32 v8, v7
	v_fma_f32 v9, -v7, v8, 1.0
	v_fmac_f32_e32 v8, v9, v8
	v_mul_f32_e32 v9, v10, v8
	v_fma_f32 v11, -v7, v9, v10
	v_fmac_f32_e32 v9, v11, v8
	v_fma_f32 v7, -v7, v9, v10
	v_div_fmas_f32 v7, v7, v8, v9
	v_div_fixup_f32 v2, v7, v5, v2
	v_fma_f32 v2, v2, v2, 1.0
	v_mul_f32_e32 v7, 0x4f800000, v2
	v_cmp_gt_f32_e32 vcc_lo, 0xf800000, v2
	v_cndmask_b32_e32 v2, v2, v7, vcc_lo
	v_sqrt_f32_e32 v7, v2
	v_add_nc_u32_e32 v8, -1, v7
	v_add_nc_u32_e32 v9, 1, v7
	v_fma_f32 v10, -v8, v7, v2
	v_fma_f32 v11, -v9, v7, v2
	v_cmp_ge_f32_e64 s1, 0, v10
	v_cndmask_b32_e64 v7, v7, v8, s1
	v_cmp_lt_f32_e64 s1, 0, v11
	v_cndmask_b32_e64 v7, v7, v9, s1
	v_mul_f32_e32 v8, 0x37800000, v7
	v_cndmask_b32_e32 v7, v7, v8, vcc_lo
	v_cmp_class_f32_e64 vcc_lo, v2, 0x260
	v_cndmask_b32_e32 v2, v7, v2, vcc_lo
	v_mul_f32_e32 v7, v5, v2
.LBB36_25:                              ;   in Loop: Header=BB36_10 Depth=2
	s_or_b32 exec_lo, exec_lo, s43
                                        ; implicit-def: $vgpr2
                                        ; implicit-def: $vgpr5
.LBB36_26:                              ;   in Loop: Header=BB36_10 Depth=2
	s_andn2_saveexec_b32 s42, s42
	s_cbranch_execz .LBB36_9
; %bb.27:                               ;   in Loop: Header=BB36_10 Depth=2
	v_div_scale_f32 v7, null, v2, v2, v5
	v_div_scale_f32 v10, vcc_lo, v5, v2, v5
	v_rcp_f32_e32 v8, v7
	v_fma_f32 v9, -v7, v8, 1.0
	v_fmac_f32_e32 v8, v9, v8
	v_mul_f32_e32 v9, v10, v8
	v_fma_f32 v11, -v7, v9, v10
	v_fmac_f32_e32 v9, v11, v8
	v_fma_f32 v7, -v7, v9, v10
	v_div_fmas_f32 v7, v7, v8, v9
	v_div_fixup_f32 v5, v7, v2, v5
	v_fma_f32 v5, v5, v5, 1.0
	v_mul_f32_e32 v7, 0x4f800000, v5
	v_cmp_gt_f32_e32 vcc_lo, 0xf800000, v5
	v_cndmask_b32_e32 v5, v5, v7, vcc_lo
	v_sqrt_f32_e32 v7, v5
	v_add_nc_u32_e32 v8, -1, v7
	v_add_nc_u32_e32 v9, 1, v7
	v_fma_f32 v10, -v8, v7, v5
	v_fma_f32 v11, -v9, v7, v5
	v_cmp_ge_f32_e64 s1, 0, v10
	v_cndmask_b32_e64 v7, v7, v8, s1
	v_cmp_lt_f32_e64 s1, 0, v11
	v_cndmask_b32_e64 v7, v7, v9, s1
	v_mul_f32_e32 v8, 0x37800000, v7
	v_cndmask_b32_e32 v7, v7, v8, vcc_lo
	v_cmp_class_f32_e64 vcc_lo, v5, 0x260
	v_cndmask_b32_e32 v5, v7, v5, vcc_lo
	v_mul_f32_e32 v7, v2, v5
	s_branch .LBB36_9
.LBB36_28:                              ;   in Loop: Header=BB36_10 Depth=2
	s_mov_b32 s42, exec_lo
	v_cmpx_lt_i32_e64 v2, v18
	s_cbranch_execz .LBB36_36
; %bb.29:                               ;   in Loop: Header=BB36_10 Depth=2
	s_mov_b32 s44, 0
                                        ; implicit-def: $sgpr43
                                        ; implicit-def: $sgpr46
                                        ; implicit-def: $sgpr45
	s_inst_prefetch 0x1
	s_branch .LBB36_31
	.p2align	6
.LBB36_30:                              ;   in Loop: Header=BB36_31 Depth=3
	s_or_b32 exec_lo, exec_lo, s47
	s_and_b32 s47, exec_lo, s46
	s_or_b32 s44, s47, s44
	s_andn2_b32 s43, s43, exec_lo
	s_and_b32 s47, s45, exec_lo
	s_or_b32 s43, s43, s47
	s_andn2_b32 exec_lo, exec_lo, s44
	s_cbranch_execz .LBB36_33
.LBB36_31:                              ;   Parent Loop BB36_6 Depth=1
                                        ;     Parent Loop BB36_10 Depth=2
                                        ; =>    This Inner Loop Header: Depth=3
	v_add_nc_u32_e32 v9, v6, v2
	s_or_b32 s45, s45, exec_lo
	s_or_b32 s46, s46, exec_lo
	s_mov_b32 s47, exec_lo
	v_ashrrev_i32_e32 v10, 31, v9
	v_lshlrev_b64 v[11:12], 2, v[9:10]
	v_add_co_u32 v11, vcc_lo, s20, v11
	v_add_co_ci_u32_e64 v12, null, s21, v12, vcc_lo
	global_load_dword v11, v[11:12], off
	s_waitcnt vmcnt(0)
	v_subrev_nc_u32_e32 v11, s36, v11
	v_cmpx_ne_u32_e64 v11, v7
	s_cbranch_execz .LBB36_30
; %bb.32:                               ;   in Loop: Header=BB36_31 Depth=3
	v_add_nc_u32_e32 v2, 1, v2
	s_andn2_b32 s46, s46, exec_lo
	s_andn2_b32 s45, s45, exec_lo
	v_cmp_ge_i32_e32 vcc_lo, v2, v18
	s_and_b32 s48, vcc_lo, exec_lo
	s_or_b32 s46, s46, s48
	s_branch .LBB36_30
.LBB36_33:                              ;   in Loop: Header=BB36_10 Depth=2
	s_inst_prefetch 0x2
	s_or_b32 exec_lo, exec_lo, s44
	s_and_saveexec_b32 s44, s43
	s_xor_b32 s43, exec_lo, s44
	s_cbranch_execz .LBB36_35
; %bb.34:                               ;   in Loop: Header=BB36_10 Depth=2
	v_lshlrev_b64 v[9:10], 3, v[9:10]
	v_lshlrev_b64 v[11:12], 3, v[7:8]
	v_add_co_u32 v9, vcc_lo, s22, v9
	v_add_co_ci_u32_e64 v10, null, s23, v10, vcc_lo
	v_add_co_u32 v11, vcc_lo, s2, v11
	v_add_co_ci_u32_e64 v12, null, s3, v12, vcc_lo
	global_load_dwordx2 v[9:10], v[9:10], off
	global_load_dwordx2 v[11:12], v[11:12], off
	s_waitcnt vmcnt(0)
	v_mul_f32_e64 v2, v12, -v10
	v_mul_f32_e32 v12, v12, v9
	v_fmac_f32_e32 v2, v9, v11
	v_fmac_f32_e32 v12, v10, v11
	v_add_f32_e32 v23, v23, v2
	v_add_f32_e32 v24, v24, v12
.LBB36_35:                              ;   in Loop: Header=BB36_10 Depth=2
	s_or_b32 exec_lo, exec_lo, s43
.LBB36_36:                              ;   in Loop: Header=BB36_10 Depth=2
	s_or_b32 exec_lo, exec_lo, s42
                                        ; implicit-def: $vgpr10
                                        ; implicit-def: $vgpr9
                                        ; implicit-def: $vgpr25
	s_andn2_saveexec_b32 s1, s1
	s_cbranch_execz .LBB36_20
.LBB36_37:                              ;   in Loop: Header=BB36_10 Depth=2
	s_mov_b32 s43, 0
                                        ; implicit-def: $sgpr42
                                        ; implicit-def: $sgpr45
                                        ; implicit-def: $sgpr44
	s_inst_prefetch 0x1
	s_branch .LBB36_39
	.p2align	6
.LBB36_38:                              ;   in Loop: Header=BB36_39 Depth=3
	s_or_b32 exec_lo, exec_lo, s46
	s_and_b32 s46, exec_lo, s45
	s_or_b32 s43, s46, s43
	s_andn2_b32 s42, s42, exec_lo
	s_and_b32 s46, s44, exec_lo
	s_or_b32 s42, s42, s46
	s_andn2_b32 exec_lo, exec_lo, s43
	s_cbranch_execz .LBB36_41
.LBB36_39:                              ;   Parent Loop BB36_6 Depth=1
                                        ;     Parent Loop BB36_10 Depth=2
                                        ; =>    This Inner Loop Header: Depth=3
	v_add_nc_u32_e32 v11, v9, v10
	s_or_b32 s44, s44, exec_lo
	s_or_b32 s45, s45, exec_lo
	s_mov_b32 s46, exec_lo
	v_ashrrev_i32_e32 v12, 31, v11
	v_lshlrev_b64 v[26:27], 2, v[11:12]
	v_add_co_u32 v26, vcc_lo, s12, v26
	v_add_co_ci_u32_e64 v27, null, s13, v27, vcc_lo
	global_load_dword v2, v[26:27], off
	s_waitcnt vmcnt(0)
	v_subrev_nc_u32_e32 v2, s37, v2
	v_cmpx_ne_u32_e64 v2, v1
	s_cbranch_execz .LBB36_38
; %bb.40:                               ;   in Loop: Header=BB36_39 Depth=3
	v_add_nc_u32_e32 v10, 1, v10
	s_andn2_b32 s45, s45, exec_lo
	s_andn2_b32 s44, s44, exec_lo
	v_cmp_ge_i32_e32 vcc_lo, v10, v25
	s_and_b32 s47, vcc_lo, exec_lo
	s_or_b32 s45, s45, s47
	s_branch .LBB36_38
.LBB36_41:                              ;   in Loop: Header=BB36_10 Depth=2
	s_inst_prefetch 0x2
	s_or_b32 exec_lo, exec_lo, s43
	s_and_saveexec_b32 s43, s42
	s_xor_b32 s42, exec_lo, s43
	s_cbranch_execz .LBB36_43
; %bb.42:                               ;   in Loop: Header=BB36_10 Depth=2
	v_lshlrev_b64 v[9:10], 3, v[11:12]
	v_add_co_u32 v9, vcc_lo, s14, v9
	v_add_co_ci_u32_e64 v10, null, s15, v10, vcc_lo
	global_load_dwordx2 v[9:10], v[9:10], off
	s_waitcnt vmcnt(0)
	v_add_f32_e32 v23, v23, v9
	v_add_f32_e32 v24, v24, v10
.LBB36_43:                              ;   in Loop: Header=BB36_10 Depth=2
	s_or_b32 exec_lo, exec_lo, s42
	s_or_b32 exec_lo, exec_lo, s1
	s_mov_b32 s1, exec_lo
	v_cmpx_eq_u32_e64 v1, v7
	s_cbranch_execnz .LBB36_21
	s_branch .LBB36_22
.LBB36_44:
	s_or_b32 exec_lo, exec_lo, s38
.LBB36_45:
	s_or_b32 exec_lo, exec_lo, s33
.LBB36_46:
	s_or_b32 exec_lo, exec_lo, s6
	v_mbcnt_lo_u32_b32 v1, -1, 0
	s_mov_b32 s0, exec_lo
	v_xor_b32_e32 v2, 1, v1
	v_cmp_gt_i32_e32 vcc_lo, 32, v2
	v_cndmask_b32_e32 v1, v1, v2, vcc_lo
	v_lshlrev_b32_e32 v1, 2, v1
	ds_bpermute_b32 v1, v1, v15
	v_cmpx_ne_u32_e32 0, v14
	s_cbranch_execz .LBB36_48
; %bb.47:
	s_waitcnt lgkmcnt(0)
	v_cmp_lt_f32_e32 vcc_lo, v15, v1
	v_lshlrev_b32_e32 v2, 2, v13
	v_cndmask_b32_e32 v1, v15, v1, vcc_lo
	ds_write_b32 v2, v1
.LBB36_48:
	s_or_b32 exec_lo, exec_lo, s0
	s_waitcnt lgkmcnt(0)
	v_lshlrev_b32_e32 v1, 2, v0
	s_mov_b32 s0, exec_lo
	s_barrier
	buffer_gl0_inv
	v_cmpx_gt_u32_e32 0x100, v0
	s_cbranch_execz .LBB36_50
; %bb.49:
	ds_read2st64_b32 v[2:3], v1 offset1:4
	s_waitcnt lgkmcnt(0)
	v_cmp_lt_f32_e32 vcc_lo, v2, v3
	v_cndmask_b32_e32 v2, v2, v3, vcc_lo
	ds_write_b32 v1, v2
.LBB36_50:
	s_or_b32 exec_lo, exec_lo, s0
	s_mov_b32 s0, exec_lo
	s_waitcnt lgkmcnt(0)
	s_barrier
	buffer_gl0_inv
	v_cmpx_gt_u32_e32 0x80, v0
	s_cbranch_execz .LBB36_52
; %bb.51:
	ds_read2st64_b32 v[2:3], v1 offset1:2
	s_waitcnt lgkmcnt(0)
	v_cmp_lt_f32_e32 vcc_lo, v2, v3
	v_cndmask_b32_e32 v2, v2, v3, vcc_lo
	ds_write_b32 v1, v2
.LBB36_52:
	s_or_b32 exec_lo, exec_lo, s0
	s_mov_b32 s0, exec_lo
	s_waitcnt lgkmcnt(0)
	;; [unrolled: 14-line block ×3, first 2 shown]
	s_barrier
	buffer_gl0_inv
	v_cmpx_gt_u32_e32 32, v0
	s_cbranch_execz .LBB36_56
; %bb.55:
	ds_read2_b32 v[2:3], v1 offset1:32
	s_waitcnt lgkmcnt(0)
	v_cmp_lt_f32_e32 vcc_lo, v2, v3
	v_cndmask_b32_e32 v2, v2, v3, vcc_lo
	ds_write_b32 v1, v2
.LBB36_56:
	s_or_b32 exec_lo, exec_lo, s0
	s_mov_b32 s0, exec_lo
	s_waitcnt lgkmcnt(0)
	s_barrier
	buffer_gl0_inv
	v_cmpx_gt_u32_e32 16, v0
	s_cbranch_execz .LBB36_58
; %bb.57:
	ds_read2_b32 v[2:3], v1 offset1:16
	s_waitcnt lgkmcnt(0)
	v_cmp_lt_f32_e32 vcc_lo, v2, v3
	v_cndmask_b32_e32 v2, v2, v3, vcc_lo
	ds_write_b32 v1, v2
.LBB36_58:
	s_or_b32 exec_lo, exec_lo, s0
	s_mov_b32 s0, exec_lo
	s_waitcnt lgkmcnt(0)
	;; [unrolled: 14-line block ×4, first 2 shown]
	s_barrier
	buffer_gl0_inv
	v_cmpx_gt_u32_e32 2, v0
	s_cbranch_execz .LBB36_64
; %bb.63:
	ds_read2_b32 v[2:3], v1 offset1:2
	s_waitcnt lgkmcnt(0)
	v_cmp_lt_f32_e32 vcc_lo, v2, v3
	v_cndmask_b32_e32 v2, v2, v3, vcc_lo
	ds_write_b32 v1, v2
.LBB36_64:
	s_or_b32 exec_lo, exec_lo, s0
	v_cmp_eq_u32_e32 vcc_lo, 0, v0
	s_waitcnt lgkmcnt(0)
	s_barrier
	buffer_gl0_inv
	s_and_saveexec_b32 s1, vcc_lo
	s_cbranch_execz .LBB36_66
; %bb.65:
	v_mov_b32_e32 v2, 0
	ds_read_b64 v[0:1], v2
	s_waitcnt lgkmcnt(0)
	v_cmp_lt_f32_e64 s0, v0, v1
	v_cndmask_b32_e64 v0, v0, v1, s0
	ds_write_b32 v2, v0
.LBB36_66:
	s_or_b32 exec_lo, exec_lo, s1
	s_waitcnt lgkmcnt(0)
	s_barrier
	buffer_gl0_inv
	s_and_saveexec_b32 s0, vcc_lo
	s_cbranch_execz .LBB36_70
; %bb.67:
	v_mbcnt_lo_u32_b32 v0, exec_lo, 0
	s_mov_b32 s6, 0
	v_cmp_eq_u32_e32 vcc_lo, 0, v0
	s_and_b32 exec_lo, exec_lo, vcc_lo
	s_cbranch_execz .LBB36_70
; %bb.68:
	s_load_dwordx4 s[0:3], s[4:5], 0x88
	v_mov_b32_e32 v2, 0
	ds_read_b32 v0, v2
	s_waitcnt lgkmcnt(0)
	s_load_dword s2, s[2:3], 0x0
	s_load_dword s3, s[0:1], 0x0
	s_waitcnt lgkmcnt(0)
	v_div_scale_f32 v1, null, s2, s2, v0
	v_rcp_f32_e32 v3, v1
	v_fma_f32 v4, -v1, v3, 1.0
	v_fmac_f32_e32 v3, v4, v3
	v_div_scale_f32 v4, vcc_lo, v0, s2, v0
	v_mul_f32_e32 v5, v4, v3
	v_fma_f32 v6, -v1, v5, v4
	v_fmac_f32_e32 v5, v6, v3
	v_fma_f32 v1, -v1, v5, v4
	v_div_fmas_f32 v1, v1, v3, v5
	v_div_fixup_f32 v0, v1, s2, v0
	v_mov_b32_e32 v1, s3
	v_max_f32_e32 v3, v0, v0
.LBB36_69:                              ; =>This Inner Loop Header: Depth=1
	v_max_f32_e32 v0, v1, v1
	v_max_f32_e32 v0, v0, v3
	global_atomic_cmpswap v0, v2, v[0:1], s[0:1] glc
	s_waitcnt vmcnt(0)
	v_cmp_eq_u32_e32 vcc_lo, v0, v1
	v_mov_b32_e32 v1, v0
	s_or_b32 s6, vcc_lo, s6
	s_andn2_b32 exec_lo, exec_lo, s6
	s_cbranch_execnz .LBB36_69
.LBB36_70:
	s_endpgm
	.section	.rodata,"a",@progbits
	.p2align	6, 0x0
	.amdhsa_kernel _ZN9rocsparseL19kernel_nrm_residualILi1024ELi2E21rocsparse_complex_numIfEiiEEvT3_T2_PKS4_S6_PKS3_PKT1_21rocsparse_index_base_S6_S6_S8_SB_SC_S6_S6_S8_SB_SC_SB_PNS_15floating_traitsIS9_E6data_tEPKSF_
		.amdhsa_group_segment_fixed_size 2048
		.amdhsa_private_segment_fixed_size 0
		.amdhsa_kernarg_size 152
		.amdhsa_user_sgpr_count 6
		.amdhsa_user_sgpr_private_segment_buffer 1
		.amdhsa_user_sgpr_dispatch_ptr 0
		.amdhsa_user_sgpr_queue_ptr 0
		.amdhsa_user_sgpr_kernarg_segment_ptr 1
		.amdhsa_user_sgpr_dispatch_id 0
		.amdhsa_user_sgpr_flat_scratch_init 0
		.amdhsa_user_sgpr_private_segment_size 0
		.amdhsa_wavefront_size32 1
		.amdhsa_uses_dynamic_stack 0
		.amdhsa_system_sgpr_private_segment_wavefront_offset 0
		.amdhsa_system_sgpr_workgroup_id_x 1
		.amdhsa_system_sgpr_workgroup_id_y 0
		.amdhsa_system_sgpr_workgroup_id_z 0
		.amdhsa_system_sgpr_workgroup_info 0
		.amdhsa_system_vgpr_workitem_id 0
		.amdhsa_next_free_vgpr 35
		.amdhsa_next_free_sgpr 49
		.amdhsa_reserve_vcc 1
		.amdhsa_reserve_flat_scratch 0
		.amdhsa_float_round_mode_32 0
		.amdhsa_float_round_mode_16_64 0
		.amdhsa_float_denorm_mode_32 3
		.amdhsa_float_denorm_mode_16_64 3
		.amdhsa_dx10_clamp 1
		.amdhsa_ieee_mode 1
		.amdhsa_fp16_overflow 0
		.amdhsa_workgroup_processor_mode 1
		.amdhsa_memory_ordered 1
		.amdhsa_forward_progress 1
		.amdhsa_shared_vgpr_count 0
		.amdhsa_exception_fp_ieee_invalid_op 0
		.amdhsa_exception_fp_denorm_src 0
		.amdhsa_exception_fp_ieee_div_zero 0
		.amdhsa_exception_fp_ieee_overflow 0
		.amdhsa_exception_fp_ieee_underflow 0
		.amdhsa_exception_fp_ieee_inexact 0
		.amdhsa_exception_int_div_zero 0
	.end_amdhsa_kernel
	.section	.text._ZN9rocsparseL19kernel_nrm_residualILi1024ELi2E21rocsparse_complex_numIfEiiEEvT3_T2_PKS4_S6_PKS3_PKT1_21rocsparse_index_base_S6_S6_S8_SB_SC_S6_S6_S8_SB_SC_SB_PNS_15floating_traitsIS9_E6data_tEPKSF_,"axG",@progbits,_ZN9rocsparseL19kernel_nrm_residualILi1024ELi2E21rocsparse_complex_numIfEiiEEvT3_T2_PKS4_S6_PKS3_PKT1_21rocsparse_index_base_S6_S6_S8_SB_SC_S6_S6_S8_SB_SC_SB_PNS_15floating_traitsIS9_E6data_tEPKSF_,comdat
.Lfunc_end36:
	.size	_ZN9rocsparseL19kernel_nrm_residualILi1024ELi2E21rocsparse_complex_numIfEiiEEvT3_T2_PKS4_S6_PKS3_PKT1_21rocsparse_index_base_S6_S6_S8_SB_SC_S6_S6_S8_SB_SC_SB_PNS_15floating_traitsIS9_E6data_tEPKSF_, .Lfunc_end36-_ZN9rocsparseL19kernel_nrm_residualILi1024ELi2E21rocsparse_complex_numIfEiiEEvT3_T2_PKS4_S6_PKS3_PKT1_21rocsparse_index_base_S6_S6_S8_SB_SC_S6_S6_S8_SB_SC_SB_PNS_15floating_traitsIS9_E6data_tEPKSF_
                                        ; -- End function
	.set _ZN9rocsparseL19kernel_nrm_residualILi1024ELi2E21rocsparse_complex_numIfEiiEEvT3_T2_PKS4_S6_PKS3_PKT1_21rocsparse_index_base_S6_S6_S8_SB_SC_S6_S6_S8_SB_SC_SB_PNS_15floating_traitsIS9_E6data_tEPKSF_.num_vgpr, 35
	.set _ZN9rocsparseL19kernel_nrm_residualILi1024ELi2E21rocsparse_complex_numIfEiiEEvT3_T2_PKS4_S6_PKS3_PKT1_21rocsparse_index_base_S6_S6_S8_SB_SC_S6_S6_S8_SB_SC_SB_PNS_15floating_traitsIS9_E6data_tEPKSF_.num_agpr, 0
	.set _ZN9rocsparseL19kernel_nrm_residualILi1024ELi2E21rocsparse_complex_numIfEiiEEvT3_T2_PKS4_S6_PKS3_PKT1_21rocsparse_index_base_S6_S6_S8_SB_SC_S6_S6_S8_SB_SC_SB_PNS_15floating_traitsIS9_E6data_tEPKSF_.numbered_sgpr, 49
	.set _ZN9rocsparseL19kernel_nrm_residualILi1024ELi2E21rocsparse_complex_numIfEiiEEvT3_T2_PKS4_S6_PKS3_PKT1_21rocsparse_index_base_S6_S6_S8_SB_SC_S6_S6_S8_SB_SC_SB_PNS_15floating_traitsIS9_E6data_tEPKSF_.num_named_barrier, 0
	.set _ZN9rocsparseL19kernel_nrm_residualILi1024ELi2E21rocsparse_complex_numIfEiiEEvT3_T2_PKS4_S6_PKS3_PKT1_21rocsparse_index_base_S6_S6_S8_SB_SC_S6_S6_S8_SB_SC_SB_PNS_15floating_traitsIS9_E6data_tEPKSF_.private_seg_size, 0
	.set _ZN9rocsparseL19kernel_nrm_residualILi1024ELi2E21rocsparse_complex_numIfEiiEEvT3_T2_PKS4_S6_PKS3_PKT1_21rocsparse_index_base_S6_S6_S8_SB_SC_S6_S6_S8_SB_SC_SB_PNS_15floating_traitsIS9_E6data_tEPKSF_.uses_vcc, 1
	.set _ZN9rocsparseL19kernel_nrm_residualILi1024ELi2E21rocsparse_complex_numIfEiiEEvT3_T2_PKS4_S6_PKS3_PKT1_21rocsparse_index_base_S6_S6_S8_SB_SC_S6_S6_S8_SB_SC_SB_PNS_15floating_traitsIS9_E6data_tEPKSF_.uses_flat_scratch, 0
	.set _ZN9rocsparseL19kernel_nrm_residualILi1024ELi2E21rocsparse_complex_numIfEiiEEvT3_T2_PKS4_S6_PKS3_PKT1_21rocsparse_index_base_S6_S6_S8_SB_SC_S6_S6_S8_SB_SC_SB_PNS_15floating_traitsIS9_E6data_tEPKSF_.has_dyn_sized_stack, 0
	.set _ZN9rocsparseL19kernel_nrm_residualILi1024ELi2E21rocsparse_complex_numIfEiiEEvT3_T2_PKS4_S6_PKS3_PKT1_21rocsparse_index_base_S6_S6_S8_SB_SC_S6_S6_S8_SB_SC_SB_PNS_15floating_traitsIS9_E6data_tEPKSF_.has_recursion, 0
	.set _ZN9rocsparseL19kernel_nrm_residualILi1024ELi2E21rocsparse_complex_numIfEiiEEvT3_T2_PKS4_S6_PKS3_PKT1_21rocsparse_index_base_S6_S6_S8_SB_SC_S6_S6_S8_SB_SC_SB_PNS_15floating_traitsIS9_E6data_tEPKSF_.has_indirect_call, 0
	.section	.AMDGPU.csdata,"",@progbits
; Kernel info:
; codeLenInByte = 3072
; TotalNumSgprs: 51
; NumVgprs: 35
; ScratchSize: 0
; MemoryBound: 0
; FloatMode: 240
; IeeeMode: 1
; LDSByteSize: 2048 bytes/workgroup (compile time only)
; SGPRBlocks: 0
; VGPRBlocks: 4
; NumSGPRsForWavesPerEU: 51
; NumVGPRsForWavesPerEU: 35
; Occupancy: 16
; WaveLimiterHint : 1
; COMPUTE_PGM_RSRC2:SCRATCH_EN: 0
; COMPUTE_PGM_RSRC2:USER_SGPR: 6
; COMPUTE_PGM_RSRC2:TRAP_HANDLER: 0
; COMPUTE_PGM_RSRC2:TGID_X_EN: 1
; COMPUTE_PGM_RSRC2:TGID_Y_EN: 0
; COMPUTE_PGM_RSRC2:TGID_Z_EN: 0
; COMPUTE_PGM_RSRC2:TIDIG_COMP_CNT: 0
	.section	.text._ZN9rocsparseL19kernel_nrm_residualILi1024ELi4E21rocsparse_complex_numIfEiiEEvT3_T2_PKS4_S6_PKS3_PKT1_21rocsparse_index_base_S6_S6_S8_SB_SC_S6_S6_S8_SB_SC_SB_PNS_15floating_traitsIS9_E6data_tEPKSF_,"axG",@progbits,_ZN9rocsparseL19kernel_nrm_residualILi1024ELi4E21rocsparse_complex_numIfEiiEEvT3_T2_PKS4_S6_PKS3_PKT1_21rocsparse_index_base_S6_S6_S8_SB_SC_S6_S6_S8_SB_SC_SB_PNS_15floating_traitsIS9_E6data_tEPKSF_,comdat
	.globl	_ZN9rocsparseL19kernel_nrm_residualILi1024ELi4E21rocsparse_complex_numIfEiiEEvT3_T2_PKS4_S6_PKS3_PKT1_21rocsparse_index_base_S6_S6_S8_SB_SC_S6_S6_S8_SB_SC_SB_PNS_15floating_traitsIS9_E6data_tEPKSF_ ; -- Begin function _ZN9rocsparseL19kernel_nrm_residualILi1024ELi4E21rocsparse_complex_numIfEiiEEvT3_T2_PKS4_S6_PKS3_PKT1_21rocsparse_index_base_S6_S6_S8_SB_SC_S6_S6_S8_SB_SC_SB_PNS_15floating_traitsIS9_E6data_tEPKSF_
	.p2align	8
	.type	_ZN9rocsparseL19kernel_nrm_residualILi1024ELi4E21rocsparse_complex_numIfEiiEEvT3_T2_PKS4_S6_PKS3_PKT1_21rocsparse_index_base_S6_S6_S8_SB_SC_S6_S6_S8_SB_SC_SB_PNS_15floating_traitsIS9_E6data_tEPKSF_,@function
_ZN9rocsparseL19kernel_nrm_residualILi1024ELi4E21rocsparse_complex_numIfEiiEEvT3_T2_PKS4_S6_PKS3_PKT1_21rocsparse_index_base_S6_S6_S8_SB_SC_S6_S6_S8_SB_SC_SB_PNS_15floating_traitsIS9_E6data_tEPKSF_: ; @_ZN9rocsparseL19kernel_nrm_residualILi1024ELi4E21rocsparse_complex_numIfEiiEEvT3_T2_PKS4_S6_PKS3_PKT1_21rocsparse_index_base_S6_S6_S8_SB_SC_S6_S6_S8_SB_SC_SB_PNS_15floating_traitsIS9_E6data_tEPKSF_
; %bb.0:
	s_load_dword s7, s[4:5], 0x0
	v_lshrrev_b32_e32 v13, 2, v0
	s_lshl_b32 s34, s6, 10
	v_and_b32_e32 v14, 3, v0
	v_mov_b32_e32 v15, 0
	s_mov_b32 s6, exec_lo
	v_or_b32_e32 v1, s34, v13
	s_waitcnt lgkmcnt(0)
	v_cmpx_gt_i32_e64 s7, v1
	s_cbranch_execz .LBB37_46
; %bb.1:
	v_mov_b32_e32 v15, 0
	s_addk_i32 s34, 0x400
	s_mov_b32 s33, exec_lo
	v_cmpx_gt_u32_e64 s34, v1
	s_cbranch_execz .LBB37_45
; %bb.2:
	s_clause 0x6
	s_load_dword s35, s[4:5], 0x28
	s_load_dwordx8 s[8:15], s[4:5], 0x58
	s_load_dwordx8 s[16:23], s[4:5], 0x30
	;; [unrolled: 1-line block ×3, first 2 shown]
	s_load_dword s36, s[4:5], 0x50
	s_load_dwordx2 s[2:3], s[4:5], 0x80
	s_load_dword s37, s[4:5], 0x78
	v_mov_b32_e32 v3, 0
	v_mov_b32_e32 v15, 0
	s_mov_b32 s38, 0
	s_waitcnt lgkmcnt(0)
	v_subrev_nc_u32_e32 v16, s35, v14
	s_branch .LBB37_6
.LBB37_3:                               ;   in Loop: Header=BB37_6 Depth=1
	s_or_b32 exec_lo, exec_lo, s41
.LBB37_4:                               ;   in Loop: Header=BB37_6 Depth=1
	s_or_b32 exec_lo, exec_lo, s40
.LBB37_5:                               ;   in Loop: Header=BB37_6 Depth=1
	s_or_b32 exec_lo, exec_lo, s39
	v_add_nc_u32_e32 v1, 0x100, v1
	v_cmp_le_u32_e32 vcc_lo, s34, v1
	s_or_b32 s38, vcc_lo, s38
	s_andn2_b32 exec_lo, exec_lo, s38
	s_cbranch_execz .LBB37_44
.LBB37_6:                               ; =>This Loop Header: Depth=1
                                        ;     Child Loop BB37_10 Depth 2
                                        ;       Child Loop BB37_14 Depth 3
                                        ;       Child Loop BB37_31 Depth 3
	;; [unrolled: 1-line block ×3, first 2 shown]
	s_mov_b32 s39, exec_lo
	v_cmpx_gt_i32_e64 s7, v1
	s_cbranch_execz .LBB37_5
; %bb.7:                                ;   in Loop: Header=BB37_6 Depth=1
	v_ashrrev_i32_e32 v2, 31, v1
	s_mov_b32 s40, exec_lo
	v_lshlrev_b64 v[5:6], 2, v[1:2]
	v_add_co_u32 v7, vcc_lo, s24, v5
	v_add_co_ci_u32_e64 v8, null, s25, v6, vcc_lo
	v_add_co_u32 v9, vcc_lo, s26, v5
	v_add_co_ci_u32_e64 v10, null, s27, v6, vcc_lo
	global_load_dword v2, v[7:8], off
	global_load_dword v7, v[9:10], off
	s_waitcnt vmcnt(1)
	v_add_nc_u32_e32 v4, v16, v2
	s_waitcnt vmcnt(0)
	v_subrev_nc_u32_e32 v17, s35, v7
	v_cmpx_lt_i32_e64 v4, v17
	s_cbranch_execz .LBB37_4
; %bb.8:                                ;   in Loop: Header=BB37_6 Depth=1
	v_add_co_u32 v7, vcc_lo, s16, v5
	v_add_co_ci_u32_e64 v8, null, s17, v6, vcc_lo
	v_add_co_u32 v5, vcc_lo, s18, v5
	v_add_co_ci_u32_e64 v6, null, s19, v6, vcc_lo
	global_load_dword v2, v[7:8], off
	s_mov_b32 s41, 0
	global_load_dword v5, v[5:6], off
	s_waitcnt vmcnt(1)
	v_subrev_nc_u32_e32 v6, s36, v2
	s_waitcnt vmcnt(0)
	v_sub_nc_u32_e32 v18, v5, v2
	v_ashrrev_i32_e32 v7, 31, v6
	v_cmp_lt_i32_e64 s0, 0, v18
	v_lshlrev_b64 v[8:9], 2, v[6:7]
	v_lshlrev_b64 v[10:11], 3, v[6:7]
	v_add_co_u32 v19, vcc_lo, s20, v8
	v_add_co_ci_u32_e64 v20, null, s21, v9, vcc_lo
	v_add_co_u32 v21, vcc_lo, s22, v10
	v_add_co_ci_u32_e64 v22, null, s23, v11, vcc_lo
	s_branch .LBB37_10
.LBB37_9:                               ;   in Loop: Header=BB37_10 Depth=2
	s_or_b32 exec_lo, exec_lo, s42
	v_add_nc_u32_e32 v4, 4, v4
	v_cmp_nlg_f32_e64 s42, 0x7f800000, |v7|
	v_cmp_gt_f32_e32 vcc_lo, v15, v7
	v_cmp_ge_i32_e64 s1, v4, v17
	s_or_b32 vcc_lo, s42, vcc_lo
	v_cndmask_b32_e32 v15, v7, v15, vcc_lo
	s_or_b32 s41, s1, s41
	s_andn2_b32 exec_lo, exec_lo, s41
	s_cbranch_execz .LBB37_3
.LBB37_10:                              ;   Parent Loop BB37_6 Depth=1
                                        ; =>  This Loop Header: Depth=2
                                        ;       Child Loop BB37_14 Depth 3
                                        ;       Child Loop BB37_31 Depth 3
                                        ;       Child Loop BB37_39 Depth 3
	v_ashrrev_i32_e32 v5, 31, v4
	v_mov_b32_e32 v23, 0
	v_mov_b32_e32 v24, 0
	v_lshlrev_b64 v[7:8], 2, v[4:5]
	v_add_co_u32 v7, vcc_lo, s28, v7
	v_add_co_ci_u32_e64 v8, null, s29, v8, vcc_lo
	global_load_dword v2, v[7:8], off
	s_waitcnt vmcnt(0)
	v_subrev_nc_u32_e32 v7, s35, v2
	v_mov_b32_e32 v2, 0
	v_ashrrev_i32_e32 v8, 31, v7
	v_lshlrev_b64 v[9:10], 2, v[7:8]
	v_add_co_u32 v11, vcc_lo, s8, v9
	v_add_co_ci_u32_e64 v12, null, s9, v10, vcc_lo
	v_add_co_u32 v9, vcc_lo, s10, v9
	v_add_co_ci_u32_e64 v10, null, s11, v10, vcc_lo
	global_load_dword v11, v[11:12], off
	global_load_dword v10, v[9:10], off
	s_waitcnt vmcnt(1)
	v_subrev_nc_u32_e32 v9, s37, v11
	s_waitcnt vmcnt(0)
	v_sub_nc_u32_e32 v25, v10, v11
	v_mov_b32_e32 v10, v2
	s_and_saveexec_b32 s42, s0
	s_cbranch_execz .LBB37_18
; %bb.11:                               ;   in Loop: Header=BB37_10 Depth=2
	v_ashrrev_i32_e32 v10, 31, v9
	v_mov_b32_e32 v23, 0
	v_mov_b32_e32 v2, 0
	;; [unrolled: 1-line block ×3, first 2 shown]
	s_mov_b32 s43, 0
	v_lshlrev_b64 v[26:27], 2, v[9:10]
	v_lshlrev_b64 v[10:11], 3, v[9:10]
                                        ; implicit-def: $sgpr44
	v_add_co_u32 v12, vcc_lo, s12, v26
	v_add_co_ci_u32_e64 v26, null, s13, v27, vcc_lo
	v_add_co_u32 v27, vcc_lo, s14, v10
	v_add_co_ci_u32_e64 v28, null, s15, v11, vcc_lo
	v_mov_b32_e32 v10, 0
	s_branch .LBB37_14
.LBB37_12:                              ;   in Loop: Header=BB37_14 Depth=3
	s_or_b32 exec_lo, exec_lo, s1
	v_cmp_le_i32_e32 vcc_lo, v29, v30
	v_cmp_ge_i32_e64 s1, v29, v30
	v_add_co_ci_u32_e64 v2, null, 0, v2, vcc_lo
	v_add_co_ci_u32_e64 v10, null, 0, v10, s1
	s_andn2_b32 s1, s44, exec_lo
	v_cmp_ge_i32_e32 vcc_lo, v2, v18
	s_and_b32 s44, vcc_lo, exec_lo
	s_or_b32 s44, s1, s44
.LBB37_13:                              ;   in Loop: Header=BB37_14 Depth=3
	s_or_b32 exec_lo, exec_lo, s45
	s_and_b32 s1, exec_lo, s44
	s_or_b32 s43, s1, s43
	s_andn2_b32 exec_lo, exec_lo, s43
	s_cbranch_execz .LBB37_17
.LBB37_14:                              ;   Parent Loop BB37_6 Depth=1
                                        ;     Parent Loop BB37_10 Depth=2
                                        ; =>    This Inner Loop Header: Depth=3
	s_or_b32 s44, s44, exec_lo
	s_mov_b32 s45, exec_lo
	v_cmpx_lt_i32_e64 v10, v25
	s_cbranch_execz .LBB37_13
; %bb.15:                               ;   in Loop: Header=BB37_14 Depth=3
	v_mov_b32_e32 v11, v3
	v_lshlrev_b64 v[29:30], 2, v[2:3]
	s_mov_b32 s1, exec_lo
	v_lshlrev_b64 v[31:32], 2, v[10:11]
	v_add_co_u32 v29, vcc_lo, v19, v29
	v_add_co_ci_u32_e64 v30, null, v20, v30, vcc_lo
	v_add_co_u32 v31, vcc_lo, v12, v31
	v_add_co_ci_u32_e64 v32, null, v26, v32, vcc_lo
	global_load_dword v29, v[29:30], off
	global_load_dword v30, v[31:32], off
	s_waitcnt vmcnt(1)
	v_subrev_nc_u32_e32 v29, s36, v29
	s_waitcnt vmcnt(0)
	v_subrev_nc_u32_e32 v30, s37, v30
	v_cmpx_eq_u32_e64 v29, v30
	s_cbranch_execz .LBB37_12
; %bb.16:                               ;   in Loop: Header=BB37_14 Depth=3
	v_lshlrev_b64 v[31:32], 3, v[2:3]
	v_lshlrev_b64 v[33:34], 3, v[10:11]
	v_add_co_u32 v31, vcc_lo, v21, v31
	v_add_co_ci_u32_e64 v32, null, v22, v32, vcc_lo
	v_add_co_u32 v33, vcc_lo, v27, v33
	v_add_co_ci_u32_e64 v34, null, v28, v34, vcc_lo
	global_load_dwordx2 v[31:32], v[31:32], off
	global_load_dwordx2 v[33:34], v[33:34], off
	s_waitcnt vmcnt(0)
	v_fmac_f32_e32 v23, v31, v33
	v_fmac_f32_e32 v24, v32, v33
	v_fma_f32 v23, -v32, v34, v23
	v_fmac_f32_e32 v24, v31, v34
	s_branch .LBB37_12
.LBB37_17:                              ;   in Loop: Header=BB37_10 Depth=2
	s_or_b32 exec_lo, exec_lo, s43
.LBB37_18:                              ;   in Loop: Header=BB37_10 Depth=2
	s_or_b32 exec_lo, exec_lo, s42
	s_mov_b32 s1, exec_lo
	v_cmpx_ge_i32_e64 v10, v25
	s_xor_b32 s1, exec_lo, s1
	s_cbranch_execnz .LBB37_28
; %bb.19:                               ;   in Loop: Header=BB37_10 Depth=2
	s_andn2_saveexec_b32 s1, s1
	s_cbranch_execnz .LBB37_37
.LBB37_20:                              ;   in Loop: Header=BB37_10 Depth=2
	s_or_b32 exec_lo, exec_lo, s1
	s_mov_b32 s1, exec_lo
	v_cmpx_eq_u32_e64 v1, v7
	s_cbranch_execz .LBB37_22
.LBB37_21:                              ;   in Loop: Header=BB37_10 Depth=2
	v_lshlrev_b64 v[7:8], 3, v[7:8]
	v_add_co_u32 v7, vcc_lo, s2, v7
	v_add_co_ci_u32_e64 v8, null, s3, v8, vcc_lo
	global_load_dwordx2 v[7:8], v[7:8], off
	s_waitcnt vmcnt(0)
	v_add_f32_e32 v23, v23, v7
	v_add_f32_e32 v24, v24, v8
.LBB37_22:                              ;   in Loop: Header=BB37_10 Depth=2
	s_or_b32 exec_lo, exec_lo, s1
	v_lshlrev_b64 v[7:8], 3, v[4:5]
	s_mov_b32 s1, exec_lo
	v_add_co_u32 v7, vcc_lo, s30, v7
	v_add_co_ci_u32_e64 v8, null, s31, v8, vcc_lo
	global_load_dwordx2 v[7:8], v[7:8], off
	s_waitcnt vmcnt(0)
	v_sub_f32_e32 v2, v7, v23
	v_sub_f32_e32 v8, v8, v24
                                        ; implicit-def: $vgpr7
	v_cmp_gt_f32_e32 vcc_lo, 0, v2
	v_cndmask_b32_e64 v2, v2, -v2, vcc_lo
	v_cmp_gt_f32_e32 vcc_lo, 0, v8
	v_cndmask_b32_e64 v5, v8, -v8, vcc_lo
	v_cmpx_ngt_f32_e32 v2, v5
	s_xor_b32 s42, exec_lo, s1
	s_cbranch_execz .LBB37_26
; %bb.23:                               ;   in Loop: Header=BB37_10 Depth=2
	v_mov_b32_e32 v7, 0
	s_mov_b32 s43, exec_lo
	v_cmpx_neq_f32_e32 0, v8
	s_cbranch_execz .LBB37_25
; %bb.24:                               ;   in Loop: Header=BB37_10 Depth=2
	v_div_scale_f32 v7, null, v5, v5, v2
	v_div_scale_f32 v10, vcc_lo, v2, v5, v2
	v_rcp_f32_e32 v8, v7
	v_fma_f32 v9, -v7, v8, 1.0
	v_fmac_f32_e32 v8, v9, v8
	v_mul_f32_e32 v9, v10, v8
	v_fma_f32 v11, -v7, v9, v10
	v_fmac_f32_e32 v9, v11, v8
	v_fma_f32 v7, -v7, v9, v10
	v_div_fmas_f32 v7, v7, v8, v9
	v_div_fixup_f32 v2, v7, v5, v2
	v_fma_f32 v2, v2, v2, 1.0
	v_mul_f32_e32 v7, 0x4f800000, v2
	v_cmp_gt_f32_e32 vcc_lo, 0xf800000, v2
	v_cndmask_b32_e32 v2, v2, v7, vcc_lo
	v_sqrt_f32_e32 v7, v2
	v_add_nc_u32_e32 v8, -1, v7
	v_add_nc_u32_e32 v9, 1, v7
	v_fma_f32 v10, -v8, v7, v2
	v_fma_f32 v11, -v9, v7, v2
	v_cmp_ge_f32_e64 s1, 0, v10
	v_cndmask_b32_e64 v7, v7, v8, s1
	v_cmp_lt_f32_e64 s1, 0, v11
	v_cndmask_b32_e64 v7, v7, v9, s1
	v_mul_f32_e32 v8, 0x37800000, v7
	v_cndmask_b32_e32 v7, v7, v8, vcc_lo
	v_cmp_class_f32_e64 vcc_lo, v2, 0x260
	v_cndmask_b32_e32 v2, v7, v2, vcc_lo
	v_mul_f32_e32 v7, v5, v2
.LBB37_25:                              ;   in Loop: Header=BB37_10 Depth=2
	s_or_b32 exec_lo, exec_lo, s43
                                        ; implicit-def: $vgpr2
                                        ; implicit-def: $vgpr5
.LBB37_26:                              ;   in Loop: Header=BB37_10 Depth=2
	s_andn2_saveexec_b32 s42, s42
	s_cbranch_execz .LBB37_9
; %bb.27:                               ;   in Loop: Header=BB37_10 Depth=2
	v_div_scale_f32 v7, null, v2, v2, v5
	v_div_scale_f32 v10, vcc_lo, v5, v2, v5
	v_rcp_f32_e32 v8, v7
	v_fma_f32 v9, -v7, v8, 1.0
	v_fmac_f32_e32 v8, v9, v8
	v_mul_f32_e32 v9, v10, v8
	v_fma_f32 v11, -v7, v9, v10
	v_fmac_f32_e32 v9, v11, v8
	v_fma_f32 v7, -v7, v9, v10
	v_div_fmas_f32 v7, v7, v8, v9
	v_div_fixup_f32 v5, v7, v2, v5
	v_fma_f32 v5, v5, v5, 1.0
	v_mul_f32_e32 v7, 0x4f800000, v5
	v_cmp_gt_f32_e32 vcc_lo, 0xf800000, v5
	v_cndmask_b32_e32 v5, v5, v7, vcc_lo
	v_sqrt_f32_e32 v7, v5
	v_add_nc_u32_e32 v8, -1, v7
	v_add_nc_u32_e32 v9, 1, v7
	v_fma_f32 v10, -v8, v7, v5
	v_fma_f32 v11, -v9, v7, v5
	v_cmp_ge_f32_e64 s1, 0, v10
	v_cndmask_b32_e64 v7, v7, v8, s1
	v_cmp_lt_f32_e64 s1, 0, v11
	v_cndmask_b32_e64 v7, v7, v9, s1
	v_mul_f32_e32 v8, 0x37800000, v7
	v_cndmask_b32_e32 v7, v7, v8, vcc_lo
	v_cmp_class_f32_e64 vcc_lo, v5, 0x260
	v_cndmask_b32_e32 v5, v7, v5, vcc_lo
	v_mul_f32_e32 v7, v2, v5
	s_branch .LBB37_9
.LBB37_28:                              ;   in Loop: Header=BB37_10 Depth=2
	s_mov_b32 s42, exec_lo
	v_cmpx_lt_i32_e64 v2, v18
	s_cbranch_execz .LBB37_36
; %bb.29:                               ;   in Loop: Header=BB37_10 Depth=2
	s_mov_b32 s44, 0
                                        ; implicit-def: $sgpr43
                                        ; implicit-def: $sgpr46
                                        ; implicit-def: $sgpr45
	s_inst_prefetch 0x1
	s_branch .LBB37_31
	.p2align	6
.LBB37_30:                              ;   in Loop: Header=BB37_31 Depth=3
	s_or_b32 exec_lo, exec_lo, s47
	s_and_b32 s47, exec_lo, s46
	s_or_b32 s44, s47, s44
	s_andn2_b32 s43, s43, exec_lo
	s_and_b32 s47, s45, exec_lo
	s_or_b32 s43, s43, s47
	s_andn2_b32 exec_lo, exec_lo, s44
	s_cbranch_execz .LBB37_33
.LBB37_31:                              ;   Parent Loop BB37_6 Depth=1
                                        ;     Parent Loop BB37_10 Depth=2
                                        ; =>    This Inner Loop Header: Depth=3
	v_add_nc_u32_e32 v9, v6, v2
	s_or_b32 s45, s45, exec_lo
	s_or_b32 s46, s46, exec_lo
	s_mov_b32 s47, exec_lo
	v_ashrrev_i32_e32 v10, 31, v9
	v_lshlrev_b64 v[11:12], 2, v[9:10]
	v_add_co_u32 v11, vcc_lo, s20, v11
	v_add_co_ci_u32_e64 v12, null, s21, v12, vcc_lo
	global_load_dword v11, v[11:12], off
	s_waitcnt vmcnt(0)
	v_subrev_nc_u32_e32 v11, s36, v11
	v_cmpx_ne_u32_e64 v11, v7
	s_cbranch_execz .LBB37_30
; %bb.32:                               ;   in Loop: Header=BB37_31 Depth=3
	v_add_nc_u32_e32 v2, 1, v2
	s_andn2_b32 s46, s46, exec_lo
	s_andn2_b32 s45, s45, exec_lo
	v_cmp_ge_i32_e32 vcc_lo, v2, v18
	s_and_b32 s48, vcc_lo, exec_lo
	s_or_b32 s46, s46, s48
	s_branch .LBB37_30
.LBB37_33:                              ;   in Loop: Header=BB37_10 Depth=2
	s_inst_prefetch 0x2
	s_or_b32 exec_lo, exec_lo, s44
	s_and_saveexec_b32 s44, s43
	s_xor_b32 s43, exec_lo, s44
	s_cbranch_execz .LBB37_35
; %bb.34:                               ;   in Loop: Header=BB37_10 Depth=2
	v_lshlrev_b64 v[9:10], 3, v[9:10]
	v_lshlrev_b64 v[11:12], 3, v[7:8]
	v_add_co_u32 v9, vcc_lo, s22, v9
	v_add_co_ci_u32_e64 v10, null, s23, v10, vcc_lo
	v_add_co_u32 v11, vcc_lo, s2, v11
	v_add_co_ci_u32_e64 v12, null, s3, v12, vcc_lo
	global_load_dwordx2 v[9:10], v[9:10], off
	global_load_dwordx2 v[11:12], v[11:12], off
	s_waitcnt vmcnt(0)
	v_mul_f32_e64 v2, v12, -v10
	v_mul_f32_e32 v12, v12, v9
	v_fmac_f32_e32 v2, v9, v11
	v_fmac_f32_e32 v12, v10, v11
	v_add_f32_e32 v23, v23, v2
	v_add_f32_e32 v24, v24, v12
.LBB37_35:                              ;   in Loop: Header=BB37_10 Depth=2
	s_or_b32 exec_lo, exec_lo, s43
.LBB37_36:                              ;   in Loop: Header=BB37_10 Depth=2
	s_or_b32 exec_lo, exec_lo, s42
                                        ; implicit-def: $vgpr10
                                        ; implicit-def: $vgpr9
                                        ; implicit-def: $vgpr25
	s_andn2_saveexec_b32 s1, s1
	s_cbranch_execz .LBB37_20
.LBB37_37:                              ;   in Loop: Header=BB37_10 Depth=2
	s_mov_b32 s43, 0
                                        ; implicit-def: $sgpr42
                                        ; implicit-def: $sgpr45
                                        ; implicit-def: $sgpr44
	s_inst_prefetch 0x1
	s_branch .LBB37_39
	.p2align	6
.LBB37_38:                              ;   in Loop: Header=BB37_39 Depth=3
	s_or_b32 exec_lo, exec_lo, s46
	s_and_b32 s46, exec_lo, s45
	s_or_b32 s43, s46, s43
	s_andn2_b32 s42, s42, exec_lo
	s_and_b32 s46, s44, exec_lo
	s_or_b32 s42, s42, s46
	s_andn2_b32 exec_lo, exec_lo, s43
	s_cbranch_execz .LBB37_41
.LBB37_39:                              ;   Parent Loop BB37_6 Depth=1
                                        ;     Parent Loop BB37_10 Depth=2
                                        ; =>    This Inner Loop Header: Depth=3
	v_add_nc_u32_e32 v11, v9, v10
	s_or_b32 s44, s44, exec_lo
	s_or_b32 s45, s45, exec_lo
	s_mov_b32 s46, exec_lo
	v_ashrrev_i32_e32 v12, 31, v11
	v_lshlrev_b64 v[26:27], 2, v[11:12]
	v_add_co_u32 v26, vcc_lo, s12, v26
	v_add_co_ci_u32_e64 v27, null, s13, v27, vcc_lo
	global_load_dword v2, v[26:27], off
	s_waitcnt vmcnt(0)
	v_subrev_nc_u32_e32 v2, s37, v2
	v_cmpx_ne_u32_e64 v2, v1
	s_cbranch_execz .LBB37_38
; %bb.40:                               ;   in Loop: Header=BB37_39 Depth=3
	v_add_nc_u32_e32 v10, 1, v10
	s_andn2_b32 s45, s45, exec_lo
	s_andn2_b32 s44, s44, exec_lo
	v_cmp_ge_i32_e32 vcc_lo, v10, v25
	s_and_b32 s47, vcc_lo, exec_lo
	s_or_b32 s45, s45, s47
	s_branch .LBB37_38
.LBB37_41:                              ;   in Loop: Header=BB37_10 Depth=2
	s_inst_prefetch 0x2
	s_or_b32 exec_lo, exec_lo, s43
	s_and_saveexec_b32 s43, s42
	s_xor_b32 s42, exec_lo, s43
	s_cbranch_execz .LBB37_43
; %bb.42:                               ;   in Loop: Header=BB37_10 Depth=2
	v_lshlrev_b64 v[9:10], 3, v[11:12]
	v_add_co_u32 v9, vcc_lo, s14, v9
	v_add_co_ci_u32_e64 v10, null, s15, v10, vcc_lo
	global_load_dwordx2 v[9:10], v[9:10], off
	s_waitcnt vmcnt(0)
	v_add_f32_e32 v23, v23, v9
	v_add_f32_e32 v24, v24, v10
.LBB37_43:                              ;   in Loop: Header=BB37_10 Depth=2
	s_or_b32 exec_lo, exec_lo, s42
	s_or_b32 exec_lo, exec_lo, s1
	s_mov_b32 s1, exec_lo
	v_cmpx_eq_u32_e64 v1, v7
	s_cbranch_execnz .LBB37_21
	s_branch .LBB37_22
.LBB37_44:
	s_or_b32 exec_lo, exec_lo, s38
.LBB37_45:
	s_or_b32 exec_lo, exec_lo, s33
.LBB37_46:
	s_or_b32 exec_lo, exec_lo, s6
	v_mbcnt_lo_u32_b32 v1, -1, 0
	s_mov_b32 s0, exec_lo
	v_xor_b32_e32 v2, 2, v1
	v_xor_b32_e32 v3, 1, v1
	v_cmp_gt_i32_e32 vcc_lo, 32, v2
	v_cndmask_b32_e32 v2, v1, v2, vcc_lo
	v_cmp_gt_i32_e32 vcc_lo, 32, v3
	v_lshlrev_b32_e32 v2, 2, v2
	v_cndmask_b32_e32 v3, v1, v3, vcc_lo
	ds_bpermute_b32 v2, v2, v15
	s_waitcnt lgkmcnt(0)
	v_cmp_lt_f32_e32 vcc_lo, v15, v2
	v_cndmask_b32_e32 v1, v15, v2, vcc_lo
	v_lshlrev_b32_e32 v2, 2, v3
	ds_bpermute_b32 v2, v2, v1
	v_cmpx_eq_u32_e32 3, v14
	s_cbranch_execz .LBB37_48
; %bb.47:
	s_waitcnt lgkmcnt(0)
	v_cmp_lt_f32_e32 vcc_lo, v1, v2
	v_lshlrev_b32_e32 v3, 2, v13
	v_cndmask_b32_e32 v1, v1, v2, vcc_lo
	ds_write_b32 v3, v1
.LBB37_48:
	s_or_b32 exec_lo, exec_lo, s0
	v_lshlrev_b32_e32 v1, 2, v0
	s_mov_b32 s0, exec_lo
	s_waitcnt lgkmcnt(0)
	s_barrier
	buffer_gl0_inv
	v_cmpx_gt_u32_e32 0x80, v0
	s_cbranch_execz .LBB37_50
; %bb.49:
	ds_read2st64_b32 v[2:3], v1 offset1:2
	s_waitcnt lgkmcnt(0)
	v_cmp_lt_f32_e32 vcc_lo, v2, v3
	v_cndmask_b32_e32 v2, v2, v3, vcc_lo
	ds_write_b32 v1, v2
.LBB37_50:
	s_or_b32 exec_lo, exec_lo, s0
	s_mov_b32 s0, exec_lo
	s_waitcnt lgkmcnt(0)
	s_barrier
	buffer_gl0_inv
	v_cmpx_gt_u32_e32 64, v0
	s_cbranch_execz .LBB37_52
; %bb.51:
	ds_read2st64_b32 v[2:3], v1 offset1:1
	s_waitcnt lgkmcnt(0)
	v_cmp_lt_f32_e32 vcc_lo, v2, v3
	v_cndmask_b32_e32 v2, v2, v3, vcc_lo
	ds_write_b32 v1, v2
.LBB37_52:
	s_or_b32 exec_lo, exec_lo, s0
	s_mov_b32 s0, exec_lo
	s_waitcnt lgkmcnt(0)
	s_barrier
	buffer_gl0_inv
	v_cmpx_gt_u32_e32 32, v0
	s_cbranch_execz .LBB37_54
; %bb.53:
	ds_read2_b32 v[2:3], v1 offset1:32
	s_waitcnt lgkmcnt(0)
	v_cmp_lt_f32_e32 vcc_lo, v2, v3
	v_cndmask_b32_e32 v2, v2, v3, vcc_lo
	ds_write_b32 v1, v2
.LBB37_54:
	s_or_b32 exec_lo, exec_lo, s0
	s_mov_b32 s0, exec_lo
	s_waitcnt lgkmcnt(0)
	s_barrier
	buffer_gl0_inv
	v_cmpx_gt_u32_e32 16, v0
	s_cbranch_execz .LBB37_56
; %bb.55:
	ds_read2_b32 v[2:3], v1 offset1:16
	s_waitcnt lgkmcnt(0)
	v_cmp_lt_f32_e32 vcc_lo, v2, v3
	v_cndmask_b32_e32 v2, v2, v3, vcc_lo
	ds_write_b32 v1, v2
.LBB37_56:
	;; [unrolled: 14-line block ×5, first 2 shown]
	s_or_b32 exec_lo, exec_lo, s0
	v_cmp_eq_u32_e32 vcc_lo, 0, v0
	s_waitcnt lgkmcnt(0)
	s_barrier
	buffer_gl0_inv
	s_and_saveexec_b32 s1, vcc_lo
	s_cbranch_execz .LBB37_64
; %bb.63:
	v_mov_b32_e32 v2, 0
	ds_read_b64 v[0:1], v2
	s_waitcnt lgkmcnt(0)
	v_cmp_lt_f32_e64 s0, v0, v1
	v_cndmask_b32_e64 v0, v0, v1, s0
	ds_write_b32 v2, v0
.LBB37_64:
	s_or_b32 exec_lo, exec_lo, s1
	s_waitcnt lgkmcnt(0)
	s_barrier
	buffer_gl0_inv
	s_and_saveexec_b32 s0, vcc_lo
	s_cbranch_execz .LBB37_68
; %bb.65:
	v_mbcnt_lo_u32_b32 v0, exec_lo, 0
	s_mov_b32 s6, 0
	v_cmp_eq_u32_e32 vcc_lo, 0, v0
	s_and_b32 exec_lo, exec_lo, vcc_lo
	s_cbranch_execz .LBB37_68
; %bb.66:
	s_load_dwordx4 s[0:3], s[4:5], 0x88
	v_mov_b32_e32 v2, 0
	ds_read_b32 v0, v2
	s_waitcnt lgkmcnt(0)
	s_load_dword s2, s[2:3], 0x0
	s_load_dword s3, s[0:1], 0x0
	s_waitcnt lgkmcnt(0)
	v_div_scale_f32 v1, null, s2, s2, v0
	v_rcp_f32_e32 v3, v1
	v_fma_f32 v4, -v1, v3, 1.0
	v_fmac_f32_e32 v3, v4, v3
	v_div_scale_f32 v4, vcc_lo, v0, s2, v0
	v_mul_f32_e32 v5, v4, v3
	v_fma_f32 v6, -v1, v5, v4
	v_fmac_f32_e32 v5, v6, v3
	v_fma_f32 v1, -v1, v5, v4
	v_div_fmas_f32 v1, v1, v3, v5
	v_div_fixup_f32 v0, v1, s2, v0
	v_mov_b32_e32 v1, s3
	v_max_f32_e32 v3, v0, v0
.LBB37_67:                              ; =>This Inner Loop Header: Depth=1
	v_max_f32_e32 v0, v1, v1
	v_max_f32_e32 v0, v0, v3
	global_atomic_cmpswap v0, v2, v[0:1], s[0:1] glc
	s_waitcnt vmcnt(0)
	v_cmp_eq_u32_e32 vcc_lo, v0, v1
	v_mov_b32_e32 v1, v0
	s_or_b32 s6, vcc_lo, s6
	s_andn2_b32 exec_lo, exec_lo, s6
	s_cbranch_execnz .LBB37_67
.LBB37_68:
	s_endpgm
	.section	.rodata,"a",@progbits
	.p2align	6, 0x0
	.amdhsa_kernel _ZN9rocsparseL19kernel_nrm_residualILi1024ELi4E21rocsparse_complex_numIfEiiEEvT3_T2_PKS4_S6_PKS3_PKT1_21rocsparse_index_base_S6_S6_S8_SB_SC_S6_S6_S8_SB_SC_SB_PNS_15floating_traitsIS9_E6data_tEPKSF_
		.amdhsa_group_segment_fixed_size 1024
		.amdhsa_private_segment_fixed_size 0
		.amdhsa_kernarg_size 152
		.amdhsa_user_sgpr_count 6
		.amdhsa_user_sgpr_private_segment_buffer 1
		.amdhsa_user_sgpr_dispatch_ptr 0
		.amdhsa_user_sgpr_queue_ptr 0
		.amdhsa_user_sgpr_kernarg_segment_ptr 1
		.amdhsa_user_sgpr_dispatch_id 0
		.amdhsa_user_sgpr_flat_scratch_init 0
		.amdhsa_user_sgpr_private_segment_size 0
		.amdhsa_wavefront_size32 1
		.amdhsa_uses_dynamic_stack 0
		.amdhsa_system_sgpr_private_segment_wavefront_offset 0
		.amdhsa_system_sgpr_workgroup_id_x 1
		.amdhsa_system_sgpr_workgroup_id_y 0
		.amdhsa_system_sgpr_workgroup_id_z 0
		.amdhsa_system_sgpr_workgroup_info 0
		.amdhsa_system_vgpr_workitem_id 0
		.amdhsa_next_free_vgpr 35
		.amdhsa_next_free_sgpr 49
		.amdhsa_reserve_vcc 1
		.amdhsa_reserve_flat_scratch 0
		.amdhsa_float_round_mode_32 0
		.amdhsa_float_round_mode_16_64 0
		.amdhsa_float_denorm_mode_32 3
		.amdhsa_float_denorm_mode_16_64 3
		.amdhsa_dx10_clamp 1
		.amdhsa_ieee_mode 1
		.amdhsa_fp16_overflow 0
		.amdhsa_workgroup_processor_mode 1
		.amdhsa_memory_ordered 1
		.amdhsa_forward_progress 1
		.amdhsa_shared_vgpr_count 0
		.amdhsa_exception_fp_ieee_invalid_op 0
		.amdhsa_exception_fp_denorm_src 0
		.amdhsa_exception_fp_ieee_div_zero 0
		.amdhsa_exception_fp_ieee_overflow 0
		.amdhsa_exception_fp_ieee_underflow 0
		.amdhsa_exception_fp_ieee_inexact 0
		.amdhsa_exception_int_div_zero 0
	.end_amdhsa_kernel
	.section	.text._ZN9rocsparseL19kernel_nrm_residualILi1024ELi4E21rocsparse_complex_numIfEiiEEvT3_T2_PKS4_S6_PKS3_PKT1_21rocsparse_index_base_S6_S6_S8_SB_SC_S6_S6_S8_SB_SC_SB_PNS_15floating_traitsIS9_E6data_tEPKSF_,"axG",@progbits,_ZN9rocsparseL19kernel_nrm_residualILi1024ELi4E21rocsparse_complex_numIfEiiEEvT3_T2_PKS4_S6_PKS3_PKT1_21rocsparse_index_base_S6_S6_S8_SB_SC_S6_S6_S8_SB_SC_SB_PNS_15floating_traitsIS9_E6data_tEPKSF_,comdat
.Lfunc_end37:
	.size	_ZN9rocsparseL19kernel_nrm_residualILi1024ELi4E21rocsparse_complex_numIfEiiEEvT3_T2_PKS4_S6_PKS3_PKT1_21rocsparse_index_base_S6_S6_S8_SB_SC_S6_S6_S8_SB_SC_SB_PNS_15floating_traitsIS9_E6data_tEPKSF_, .Lfunc_end37-_ZN9rocsparseL19kernel_nrm_residualILi1024ELi4E21rocsparse_complex_numIfEiiEEvT3_T2_PKS4_S6_PKS3_PKT1_21rocsparse_index_base_S6_S6_S8_SB_SC_S6_S6_S8_SB_SC_SB_PNS_15floating_traitsIS9_E6data_tEPKSF_
                                        ; -- End function
	.set _ZN9rocsparseL19kernel_nrm_residualILi1024ELi4E21rocsparse_complex_numIfEiiEEvT3_T2_PKS4_S6_PKS3_PKT1_21rocsparse_index_base_S6_S6_S8_SB_SC_S6_S6_S8_SB_SC_SB_PNS_15floating_traitsIS9_E6data_tEPKSF_.num_vgpr, 35
	.set _ZN9rocsparseL19kernel_nrm_residualILi1024ELi4E21rocsparse_complex_numIfEiiEEvT3_T2_PKS4_S6_PKS3_PKT1_21rocsparse_index_base_S6_S6_S8_SB_SC_S6_S6_S8_SB_SC_SB_PNS_15floating_traitsIS9_E6data_tEPKSF_.num_agpr, 0
	.set _ZN9rocsparseL19kernel_nrm_residualILi1024ELi4E21rocsparse_complex_numIfEiiEEvT3_T2_PKS4_S6_PKS3_PKT1_21rocsparse_index_base_S6_S6_S8_SB_SC_S6_S6_S8_SB_SC_SB_PNS_15floating_traitsIS9_E6data_tEPKSF_.numbered_sgpr, 49
	.set _ZN9rocsparseL19kernel_nrm_residualILi1024ELi4E21rocsparse_complex_numIfEiiEEvT3_T2_PKS4_S6_PKS3_PKT1_21rocsparse_index_base_S6_S6_S8_SB_SC_S6_S6_S8_SB_SC_SB_PNS_15floating_traitsIS9_E6data_tEPKSF_.num_named_barrier, 0
	.set _ZN9rocsparseL19kernel_nrm_residualILi1024ELi4E21rocsparse_complex_numIfEiiEEvT3_T2_PKS4_S6_PKS3_PKT1_21rocsparse_index_base_S6_S6_S8_SB_SC_S6_S6_S8_SB_SC_SB_PNS_15floating_traitsIS9_E6data_tEPKSF_.private_seg_size, 0
	.set _ZN9rocsparseL19kernel_nrm_residualILi1024ELi4E21rocsparse_complex_numIfEiiEEvT3_T2_PKS4_S6_PKS3_PKT1_21rocsparse_index_base_S6_S6_S8_SB_SC_S6_S6_S8_SB_SC_SB_PNS_15floating_traitsIS9_E6data_tEPKSF_.uses_vcc, 1
	.set _ZN9rocsparseL19kernel_nrm_residualILi1024ELi4E21rocsparse_complex_numIfEiiEEvT3_T2_PKS4_S6_PKS3_PKT1_21rocsparse_index_base_S6_S6_S8_SB_SC_S6_S6_S8_SB_SC_SB_PNS_15floating_traitsIS9_E6data_tEPKSF_.uses_flat_scratch, 0
	.set _ZN9rocsparseL19kernel_nrm_residualILi1024ELi4E21rocsparse_complex_numIfEiiEEvT3_T2_PKS4_S6_PKS3_PKT1_21rocsparse_index_base_S6_S6_S8_SB_SC_S6_S6_S8_SB_SC_SB_PNS_15floating_traitsIS9_E6data_tEPKSF_.has_dyn_sized_stack, 0
	.set _ZN9rocsparseL19kernel_nrm_residualILi1024ELi4E21rocsparse_complex_numIfEiiEEvT3_T2_PKS4_S6_PKS3_PKT1_21rocsparse_index_base_S6_S6_S8_SB_SC_S6_S6_S8_SB_SC_SB_PNS_15floating_traitsIS9_E6data_tEPKSF_.has_recursion, 0
	.set _ZN9rocsparseL19kernel_nrm_residualILi1024ELi4E21rocsparse_complex_numIfEiiEEvT3_T2_PKS4_S6_PKS3_PKT1_21rocsparse_index_base_S6_S6_S8_SB_SC_S6_S6_S8_SB_SC_SB_PNS_15floating_traitsIS9_E6data_tEPKSF_.has_indirect_call, 0
	.section	.AMDGPU.csdata,"",@progbits
; Kernel info:
; codeLenInByte = 3044
; TotalNumSgprs: 51
; NumVgprs: 35
; ScratchSize: 0
; MemoryBound: 0
; FloatMode: 240
; IeeeMode: 1
; LDSByteSize: 1024 bytes/workgroup (compile time only)
; SGPRBlocks: 0
; VGPRBlocks: 4
; NumSGPRsForWavesPerEU: 51
; NumVGPRsForWavesPerEU: 35
; Occupancy: 16
; WaveLimiterHint : 1
; COMPUTE_PGM_RSRC2:SCRATCH_EN: 0
; COMPUTE_PGM_RSRC2:USER_SGPR: 6
; COMPUTE_PGM_RSRC2:TRAP_HANDLER: 0
; COMPUTE_PGM_RSRC2:TGID_X_EN: 1
; COMPUTE_PGM_RSRC2:TGID_Y_EN: 0
; COMPUTE_PGM_RSRC2:TGID_Z_EN: 0
; COMPUTE_PGM_RSRC2:TIDIG_COMP_CNT: 0
	.section	.text._ZN9rocsparseL19kernel_nrm_residualILi1024ELi8E21rocsparse_complex_numIfEiiEEvT3_T2_PKS4_S6_PKS3_PKT1_21rocsparse_index_base_S6_S6_S8_SB_SC_S6_S6_S8_SB_SC_SB_PNS_15floating_traitsIS9_E6data_tEPKSF_,"axG",@progbits,_ZN9rocsparseL19kernel_nrm_residualILi1024ELi8E21rocsparse_complex_numIfEiiEEvT3_T2_PKS4_S6_PKS3_PKT1_21rocsparse_index_base_S6_S6_S8_SB_SC_S6_S6_S8_SB_SC_SB_PNS_15floating_traitsIS9_E6data_tEPKSF_,comdat
	.globl	_ZN9rocsparseL19kernel_nrm_residualILi1024ELi8E21rocsparse_complex_numIfEiiEEvT3_T2_PKS4_S6_PKS3_PKT1_21rocsparse_index_base_S6_S6_S8_SB_SC_S6_S6_S8_SB_SC_SB_PNS_15floating_traitsIS9_E6data_tEPKSF_ ; -- Begin function _ZN9rocsparseL19kernel_nrm_residualILi1024ELi8E21rocsparse_complex_numIfEiiEEvT3_T2_PKS4_S6_PKS3_PKT1_21rocsparse_index_base_S6_S6_S8_SB_SC_S6_S6_S8_SB_SC_SB_PNS_15floating_traitsIS9_E6data_tEPKSF_
	.p2align	8
	.type	_ZN9rocsparseL19kernel_nrm_residualILi1024ELi8E21rocsparse_complex_numIfEiiEEvT3_T2_PKS4_S6_PKS3_PKT1_21rocsparse_index_base_S6_S6_S8_SB_SC_S6_S6_S8_SB_SC_SB_PNS_15floating_traitsIS9_E6data_tEPKSF_,@function
_ZN9rocsparseL19kernel_nrm_residualILi1024ELi8E21rocsparse_complex_numIfEiiEEvT3_T2_PKS4_S6_PKS3_PKT1_21rocsparse_index_base_S6_S6_S8_SB_SC_S6_S6_S8_SB_SC_SB_PNS_15floating_traitsIS9_E6data_tEPKSF_: ; @_ZN9rocsparseL19kernel_nrm_residualILi1024ELi8E21rocsparse_complex_numIfEiiEEvT3_T2_PKS4_S6_PKS3_PKT1_21rocsparse_index_base_S6_S6_S8_SB_SC_S6_S6_S8_SB_SC_SB_PNS_15floating_traitsIS9_E6data_tEPKSF_
; %bb.0:
	s_load_dword s7, s[4:5], 0x0
	v_lshrrev_b32_e32 v13, 3, v0
	s_lshl_b32 s34, s6, 10
	v_and_b32_e32 v14, 7, v0
	v_mov_b32_e32 v15, 0
	s_mov_b32 s6, exec_lo
	v_or_b32_e32 v1, s34, v13
	s_waitcnt lgkmcnt(0)
	v_cmpx_gt_i32_e64 s7, v1
	s_cbranch_execz .LBB38_46
; %bb.1:
	v_mov_b32_e32 v15, 0
	s_addk_i32 s34, 0x400
	s_mov_b32 s33, exec_lo
	v_cmpx_gt_u32_e64 s34, v1
	s_cbranch_execz .LBB38_45
; %bb.2:
	s_clause 0x6
	s_load_dword s35, s[4:5], 0x28
	s_load_dwordx8 s[8:15], s[4:5], 0x58
	s_load_dwordx8 s[16:23], s[4:5], 0x30
	;; [unrolled: 1-line block ×3, first 2 shown]
	s_load_dword s36, s[4:5], 0x50
	s_load_dwordx2 s[2:3], s[4:5], 0x80
	s_load_dword s37, s[4:5], 0x78
	v_mov_b32_e32 v3, 0
	v_mov_b32_e32 v15, 0
	s_mov_b32 s38, 0
	s_waitcnt lgkmcnt(0)
	v_subrev_nc_u32_e32 v16, s35, v14
	s_branch .LBB38_6
.LBB38_3:                               ;   in Loop: Header=BB38_6 Depth=1
	s_or_b32 exec_lo, exec_lo, s41
.LBB38_4:                               ;   in Loop: Header=BB38_6 Depth=1
	s_or_b32 exec_lo, exec_lo, s40
.LBB38_5:                               ;   in Loop: Header=BB38_6 Depth=1
	s_or_b32 exec_lo, exec_lo, s39
	v_add_nc_u32_e32 v1, 0x80, v1
	v_cmp_le_u32_e32 vcc_lo, s34, v1
	s_or_b32 s38, vcc_lo, s38
	s_andn2_b32 exec_lo, exec_lo, s38
	s_cbranch_execz .LBB38_44
.LBB38_6:                               ; =>This Loop Header: Depth=1
                                        ;     Child Loop BB38_10 Depth 2
                                        ;       Child Loop BB38_14 Depth 3
                                        ;       Child Loop BB38_31 Depth 3
	;; [unrolled: 1-line block ×3, first 2 shown]
	s_mov_b32 s39, exec_lo
	v_cmpx_gt_i32_e64 s7, v1
	s_cbranch_execz .LBB38_5
; %bb.7:                                ;   in Loop: Header=BB38_6 Depth=1
	v_ashrrev_i32_e32 v2, 31, v1
	s_mov_b32 s40, exec_lo
	v_lshlrev_b64 v[5:6], 2, v[1:2]
	v_add_co_u32 v7, vcc_lo, s24, v5
	v_add_co_ci_u32_e64 v8, null, s25, v6, vcc_lo
	v_add_co_u32 v9, vcc_lo, s26, v5
	v_add_co_ci_u32_e64 v10, null, s27, v6, vcc_lo
	global_load_dword v2, v[7:8], off
	global_load_dword v7, v[9:10], off
	s_waitcnt vmcnt(1)
	v_add_nc_u32_e32 v4, v16, v2
	s_waitcnt vmcnt(0)
	v_subrev_nc_u32_e32 v17, s35, v7
	v_cmpx_lt_i32_e64 v4, v17
	s_cbranch_execz .LBB38_4
; %bb.8:                                ;   in Loop: Header=BB38_6 Depth=1
	v_add_co_u32 v7, vcc_lo, s16, v5
	v_add_co_ci_u32_e64 v8, null, s17, v6, vcc_lo
	v_add_co_u32 v5, vcc_lo, s18, v5
	v_add_co_ci_u32_e64 v6, null, s19, v6, vcc_lo
	global_load_dword v2, v[7:8], off
	s_mov_b32 s41, 0
	global_load_dword v5, v[5:6], off
	s_waitcnt vmcnt(1)
	v_subrev_nc_u32_e32 v6, s36, v2
	s_waitcnt vmcnt(0)
	v_sub_nc_u32_e32 v18, v5, v2
	v_ashrrev_i32_e32 v7, 31, v6
	v_cmp_lt_i32_e64 s0, 0, v18
	v_lshlrev_b64 v[8:9], 2, v[6:7]
	v_lshlrev_b64 v[10:11], 3, v[6:7]
	v_add_co_u32 v19, vcc_lo, s20, v8
	v_add_co_ci_u32_e64 v20, null, s21, v9, vcc_lo
	v_add_co_u32 v21, vcc_lo, s22, v10
	v_add_co_ci_u32_e64 v22, null, s23, v11, vcc_lo
	s_branch .LBB38_10
.LBB38_9:                               ;   in Loop: Header=BB38_10 Depth=2
	s_or_b32 exec_lo, exec_lo, s42
	v_add_nc_u32_e32 v4, 8, v4
	v_cmp_nlg_f32_e64 s42, 0x7f800000, |v7|
	v_cmp_gt_f32_e32 vcc_lo, v15, v7
	v_cmp_ge_i32_e64 s1, v4, v17
	s_or_b32 vcc_lo, s42, vcc_lo
	v_cndmask_b32_e32 v15, v7, v15, vcc_lo
	s_or_b32 s41, s1, s41
	s_andn2_b32 exec_lo, exec_lo, s41
	s_cbranch_execz .LBB38_3
.LBB38_10:                              ;   Parent Loop BB38_6 Depth=1
                                        ; =>  This Loop Header: Depth=2
                                        ;       Child Loop BB38_14 Depth 3
                                        ;       Child Loop BB38_31 Depth 3
	;; [unrolled: 1-line block ×3, first 2 shown]
	v_ashrrev_i32_e32 v5, 31, v4
	v_mov_b32_e32 v23, 0
	v_mov_b32_e32 v24, 0
	v_lshlrev_b64 v[7:8], 2, v[4:5]
	v_add_co_u32 v7, vcc_lo, s28, v7
	v_add_co_ci_u32_e64 v8, null, s29, v8, vcc_lo
	global_load_dword v2, v[7:8], off
	s_waitcnt vmcnt(0)
	v_subrev_nc_u32_e32 v7, s35, v2
	v_mov_b32_e32 v2, 0
	v_ashrrev_i32_e32 v8, 31, v7
	v_lshlrev_b64 v[9:10], 2, v[7:8]
	v_add_co_u32 v11, vcc_lo, s8, v9
	v_add_co_ci_u32_e64 v12, null, s9, v10, vcc_lo
	v_add_co_u32 v9, vcc_lo, s10, v9
	v_add_co_ci_u32_e64 v10, null, s11, v10, vcc_lo
	global_load_dword v11, v[11:12], off
	global_load_dword v10, v[9:10], off
	s_waitcnt vmcnt(1)
	v_subrev_nc_u32_e32 v9, s37, v11
	s_waitcnt vmcnt(0)
	v_sub_nc_u32_e32 v25, v10, v11
	v_mov_b32_e32 v10, v2
	s_and_saveexec_b32 s42, s0
	s_cbranch_execz .LBB38_18
; %bb.11:                               ;   in Loop: Header=BB38_10 Depth=2
	v_ashrrev_i32_e32 v10, 31, v9
	v_mov_b32_e32 v23, 0
	v_mov_b32_e32 v2, 0
	;; [unrolled: 1-line block ×3, first 2 shown]
	s_mov_b32 s43, 0
	v_lshlrev_b64 v[26:27], 2, v[9:10]
	v_lshlrev_b64 v[10:11], 3, v[9:10]
                                        ; implicit-def: $sgpr44
	v_add_co_u32 v12, vcc_lo, s12, v26
	v_add_co_ci_u32_e64 v26, null, s13, v27, vcc_lo
	v_add_co_u32 v27, vcc_lo, s14, v10
	v_add_co_ci_u32_e64 v28, null, s15, v11, vcc_lo
	v_mov_b32_e32 v10, 0
	s_branch .LBB38_14
.LBB38_12:                              ;   in Loop: Header=BB38_14 Depth=3
	s_or_b32 exec_lo, exec_lo, s1
	v_cmp_le_i32_e32 vcc_lo, v29, v30
	v_cmp_ge_i32_e64 s1, v29, v30
	v_add_co_ci_u32_e64 v2, null, 0, v2, vcc_lo
	v_add_co_ci_u32_e64 v10, null, 0, v10, s1
	s_andn2_b32 s1, s44, exec_lo
	v_cmp_ge_i32_e32 vcc_lo, v2, v18
	s_and_b32 s44, vcc_lo, exec_lo
	s_or_b32 s44, s1, s44
.LBB38_13:                              ;   in Loop: Header=BB38_14 Depth=3
	s_or_b32 exec_lo, exec_lo, s45
	s_and_b32 s1, exec_lo, s44
	s_or_b32 s43, s1, s43
	s_andn2_b32 exec_lo, exec_lo, s43
	s_cbranch_execz .LBB38_17
.LBB38_14:                              ;   Parent Loop BB38_6 Depth=1
                                        ;     Parent Loop BB38_10 Depth=2
                                        ; =>    This Inner Loop Header: Depth=3
	s_or_b32 s44, s44, exec_lo
	s_mov_b32 s45, exec_lo
	v_cmpx_lt_i32_e64 v10, v25
	s_cbranch_execz .LBB38_13
; %bb.15:                               ;   in Loop: Header=BB38_14 Depth=3
	v_mov_b32_e32 v11, v3
	v_lshlrev_b64 v[29:30], 2, v[2:3]
	s_mov_b32 s1, exec_lo
	v_lshlrev_b64 v[31:32], 2, v[10:11]
	v_add_co_u32 v29, vcc_lo, v19, v29
	v_add_co_ci_u32_e64 v30, null, v20, v30, vcc_lo
	v_add_co_u32 v31, vcc_lo, v12, v31
	v_add_co_ci_u32_e64 v32, null, v26, v32, vcc_lo
	global_load_dword v29, v[29:30], off
	global_load_dword v30, v[31:32], off
	s_waitcnt vmcnt(1)
	v_subrev_nc_u32_e32 v29, s36, v29
	s_waitcnt vmcnt(0)
	v_subrev_nc_u32_e32 v30, s37, v30
	v_cmpx_eq_u32_e64 v29, v30
	s_cbranch_execz .LBB38_12
; %bb.16:                               ;   in Loop: Header=BB38_14 Depth=3
	v_lshlrev_b64 v[31:32], 3, v[2:3]
	v_lshlrev_b64 v[33:34], 3, v[10:11]
	v_add_co_u32 v31, vcc_lo, v21, v31
	v_add_co_ci_u32_e64 v32, null, v22, v32, vcc_lo
	v_add_co_u32 v33, vcc_lo, v27, v33
	v_add_co_ci_u32_e64 v34, null, v28, v34, vcc_lo
	global_load_dwordx2 v[31:32], v[31:32], off
	global_load_dwordx2 v[33:34], v[33:34], off
	s_waitcnt vmcnt(0)
	v_fmac_f32_e32 v23, v31, v33
	v_fmac_f32_e32 v24, v32, v33
	v_fma_f32 v23, -v32, v34, v23
	v_fmac_f32_e32 v24, v31, v34
	s_branch .LBB38_12
.LBB38_17:                              ;   in Loop: Header=BB38_10 Depth=2
	s_or_b32 exec_lo, exec_lo, s43
.LBB38_18:                              ;   in Loop: Header=BB38_10 Depth=2
	s_or_b32 exec_lo, exec_lo, s42
	s_mov_b32 s1, exec_lo
	v_cmpx_ge_i32_e64 v10, v25
	s_xor_b32 s1, exec_lo, s1
	s_cbranch_execnz .LBB38_28
; %bb.19:                               ;   in Loop: Header=BB38_10 Depth=2
	s_andn2_saveexec_b32 s1, s1
	s_cbranch_execnz .LBB38_37
.LBB38_20:                              ;   in Loop: Header=BB38_10 Depth=2
	s_or_b32 exec_lo, exec_lo, s1
	s_mov_b32 s1, exec_lo
	v_cmpx_eq_u32_e64 v1, v7
	s_cbranch_execz .LBB38_22
.LBB38_21:                              ;   in Loop: Header=BB38_10 Depth=2
	v_lshlrev_b64 v[7:8], 3, v[7:8]
	v_add_co_u32 v7, vcc_lo, s2, v7
	v_add_co_ci_u32_e64 v8, null, s3, v8, vcc_lo
	global_load_dwordx2 v[7:8], v[7:8], off
	s_waitcnt vmcnt(0)
	v_add_f32_e32 v23, v23, v7
	v_add_f32_e32 v24, v24, v8
.LBB38_22:                              ;   in Loop: Header=BB38_10 Depth=2
	s_or_b32 exec_lo, exec_lo, s1
	v_lshlrev_b64 v[7:8], 3, v[4:5]
	s_mov_b32 s1, exec_lo
	v_add_co_u32 v7, vcc_lo, s30, v7
	v_add_co_ci_u32_e64 v8, null, s31, v8, vcc_lo
	global_load_dwordx2 v[7:8], v[7:8], off
	s_waitcnt vmcnt(0)
	v_sub_f32_e32 v2, v7, v23
	v_sub_f32_e32 v8, v8, v24
                                        ; implicit-def: $vgpr7
	v_cmp_gt_f32_e32 vcc_lo, 0, v2
	v_cndmask_b32_e64 v2, v2, -v2, vcc_lo
	v_cmp_gt_f32_e32 vcc_lo, 0, v8
	v_cndmask_b32_e64 v5, v8, -v8, vcc_lo
	v_cmpx_ngt_f32_e32 v2, v5
	s_xor_b32 s42, exec_lo, s1
	s_cbranch_execz .LBB38_26
; %bb.23:                               ;   in Loop: Header=BB38_10 Depth=2
	v_mov_b32_e32 v7, 0
	s_mov_b32 s43, exec_lo
	v_cmpx_neq_f32_e32 0, v8
	s_cbranch_execz .LBB38_25
; %bb.24:                               ;   in Loop: Header=BB38_10 Depth=2
	v_div_scale_f32 v7, null, v5, v5, v2
	v_div_scale_f32 v10, vcc_lo, v2, v5, v2
	v_rcp_f32_e32 v8, v7
	v_fma_f32 v9, -v7, v8, 1.0
	v_fmac_f32_e32 v8, v9, v8
	v_mul_f32_e32 v9, v10, v8
	v_fma_f32 v11, -v7, v9, v10
	v_fmac_f32_e32 v9, v11, v8
	v_fma_f32 v7, -v7, v9, v10
	v_div_fmas_f32 v7, v7, v8, v9
	v_div_fixup_f32 v2, v7, v5, v2
	v_fma_f32 v2, v2, v2, 1.0
	v_mul_f32_e32 v7, 0x4f800000, v2
	v_cmp_gt_f32_e32 vcc_lo, 0xf800000, v2
	v_cndmask_b32_e32 v2, v2, v7, vcc_lo
	v_sqrt_f32_e32 v7, v2
	v_add_nc_u32_e32 v8, -1, v7
	v_add_nc_u32_e32 v9, 1, v7
	v_fma_f32 v10, -v8, v7, v2
	v_fma_f32 v11, -v9, v7, v2
	v_cmp_ge_f32_e64 s1, 0, v10
	v_cndmask_b32_e64 v7, v7, v8, s1
	v_cmp_lt_f32_e64 s1, 0, v11
	v_cndmask_b32_e64 v7, v7, v9, s1
	v_mul_f32_e32 v8, 0x37800000, v7
	v_cndmask_b32_e32 v7, v7, v8, vcc_lo
	v_cmp_class_f32_e64 vcc_lo, v2, 0x260
	v_cndmask_b32_e32 v2, v7, v2, vcc_lo
	v_mul_f32_e32 v7, v5, v2
.LBB38_25:                              ;   in Loop: Header=BB38_10 Depth=2
	s_or_b32 exec_lo, exec_lo, s43
                                        ; implicit-def: $vgpr2
                                        ; implicit-def: $vgpr5
.LBB38_26:                              ;   in Loop: Header=BB38_10 Depth=2
	s_andn2_saveexec_b32 s42, s42
	s_cbranch_execz .LBB38_9
; %bb.27:                               ;   in Loop: Header=BB38_10 Depth=2
	v_div_scale_f32 v7, null, v2, v2, v5
	v_div_scale_f32 v10, vcc_lo, v5, v2, v5
	v_rcp_f32_e32 v8, v7
	v_fma_f32 v9, -v7, v8, 1.0
	v_fmac_f32_e32 v8, v9, v8
	v_mul_f32_e32 v9, v10, v8
	v_fma_f32 v11, -v7, v9, v10
	v_fmac_f32_e32 v9, v11, v8
	v_fma_f32 v7, -v7, v9, v10
	v_div_fmas_f32 v7, v7, v8, v9
	v_div_fixup_f32 v5, v7, v2, v5
	v_fma_f32 v5, v5, v5, 1.0
	v_mul_f32_e32 v7, 0x4f800000, v5
	v_cmp_gt_f32_e32 vcc_lo, 0xf800000, v5
	v_cndmask_b32_e32 v5, v5, v7, vcc_lo
	v_sqrt_f32_e32 v7, v5
	v_add_nc_u32_e32 v8, -1, v7
	v_add_nc_u32_e32 v9, 1, v7
	v_fma_f32 v10, -v8, v7, v5
	v_fma_f32 v11, -v9, v7, v5
	v_cmp_ge_f32_e64 s1, 0, v10
	v_cndmask_b32_e64 v7, v7, v8, s1
	v_cmp_lt_f32_e64 s1, 0, v11
	v_cndmask_b32_e64 v7, v7, v9, s1
	v_mul_f32_e32 v8, 0x37800000, v7
	v_cndmask_b32_e32 v7, v7, v8, vcc_lo
	v_cmp_class_f32_e64 vcc_lo, v5, 0x260
	v_cndmask_b32_e32 v5, v7, v5, vcc_lo
	v_mul_f32_e32 v7, v2, v5
	s_branch .LBB38_9
.LBB38_28:                              ;   in Loop: Header=BB38_10 Depth=2
	s_mov_b32 s42, exec_lo
	v_cmpx_lt_i32_e64 v2, v18
	s_cbranch_execz .LBB38_36
; %bb.29:                               ;   in Loop: Header=BB38_10 Depth=2
	s_mov_b32 s44, 0
                                        ; implicit-def: $sgpr43
                                        ; implicit-def: $sgpr46
                                        ; implicit-def: $sgpr45
	s_inst_prefetch 0x1
	s_branch .LBB38_31
	.p2align	6
.LBB38_30:                              ;   in Loop: Header=BB38_31 Depth=3
	s_or_b32 exec_lo, exec_lo, s47
	s_and_b32 s47, exec_lo, s46
	s_or_b32 s44, s47, s44
	s_andn2_b32 s43, s43, exec_lo
	s_and_b32 s47, s45, exec_lo
	s_or_b32 s43, s43, s47
	s_andn2_b32 exec_lo, exec_lo, s44
	s_cbranch_execz .LBB38_33
.LBB38_31:                              ;   Parent Loop BB38_6 Depth=1
                                        ;     Parent Loop BB38_10 Depth=2
                                        ; =>    This Inner Loop Header: Depth=3
	v_add_nc_u32_e32 v9, v6, v2
	s_or_b32 s45, s45, exec_lo
	s_or_b32 s46, s46, exec_lo
	s_mov_b32 s47, exec_lo
	v_ashrrev_i32_e32 v10, 31, v9
	v_lshlrev_b64 v[11:12], 2, v[9:10]
	v_add_co_u32 v11, vcc_lo, s20, v11
	v_add_co_ci_u32_e64 v12, null, s21, v12, vcc_lo
	global_load_dword v11, v[11:12], off
	s_waitcnt vmcnt(0)
	v_subrev_nc_u32_e32 v11, s36, v11
	v_cmpx_ne_u32_e64 v11, v7
	s_cbranch_execz .LBB38_30
; %bb.32:                               ;   in Loop: Header=BB38_31 Depth=3
	v_add_nc_u32_e32 v2, 1, v2
	s_andn2_b32 s46, s46, exec_lo
	s_andn2_b32 s45, s45, exec_lo
	v_cmp_ge_i32_e32 vcc_lo, v2, v18
	s_and_b32 s48, vcc_lo, exec_lo
	s_or_b32 s46, s46, s48
	s_branch .LBB38_30
.LBB38_33:                              ;   in Loop: Header=BB38_10 Depth=2
	s_inst_prefetch 0x2
	s_or_b32 exec_lo, exec_lo, s44
	s_and_saveexec_b32 s44, s43
	s_xor_b32 s43, exec_lo, s44
	s_cbranch_execz .LBB38_35
; %bb.34:                               ;   in Loop: Header=BB38_10 Depth=2
	v_lshlrev_b64 v[9:10], 3, v[9:10]
	v_lshlrev_b64 v[11:12], 3, v[7:8]
	v_add_co_u32 v9, vcc_lo, s22, v9
	v_add_co_ci_u32_e64 v10, null, s23, v10, vcc_lo
	v_add_co_u32 v11, vcc_lo, s2, v11
	v_add_co_ci_u32_e64 v12, null, s3, v12, vcc_lo
	global_load_dwordx2 v[9:10], v[9:10], off
	global_load_dwordx2 v[11:12], v[11:12], off
	s_waitcnt vmcnt(0)
	v_mul_f32_e64 v2, v12, -v10
	v_mul_f32_e32 v12, v12, v9
	v_fmac_f32_e32 v2, v9, v11
	v_fmac_f32_e32 v12, v10, v11
	v_add_f32_e32 v23, v23, v2
	v_add_f32_e32 v24, v24, v12
.LBB38_35:                              ;   in Loop: Header=BB38_10 Depth=2
	s_or_b32 exec_lo, exec_lo, s43
.LBB38_36:                              ;   in Loop: Header=BB38_10 Depth=2
	s_or_b32 exec_lo, exec_lo, s42
                                        ; implicit-def: $vgpr10
                                        ; implicit-def: $vgpr9
                                        ; implicit-def: $vgpr25
	s_andn2_saveexec_b32 s1, s1
	s_cbranch_execz .LBB38_20
.LBB38_37:                              ;   in Loop: Header=BB38_10 Depth=2
	s_mov_b32 s43, 0
                                        ; implicit-def: $sgpr42
                                        ; implicit-def: $sgpr45
                                        ; implicit-def: $sgpr44
	s_inst_prefetch 0x1
	s_branch .LBB38_39
	.p2align	6
.LBB38_38:                              ;   in Loop: Header=BB38_39 Depth=3
	s_or_b32 exec_lo, exec_lo, s46
	s_and_b32 s46, exec_lo, s45
	s_or_b32 s43, s46, s43
	s_andn2_b32 s42, s42, exec_lo
	s_and_b32 s46, s44, exec_lo
	s_or_b32 s42, s42, s46
	s_andn2_b32 exec_lo, exec_lo, s43
	s_cbranch_execz .LBB38_41
.LBB38_39:                              ;   Parent Loop BB38_6 Depth=1
                                        ;     Parent Loop BB38_10 Depth=2
                                        ; =>    This Inner Loop Header: Depth=3
	v_add_nc_u32_e32 v11, v9, v10
	s_or_b32 s44, s44, exec_lo
	s_or_b32 s45, s45, exec_lo
	s_mov_b32 s46, exec_lo
	v_ashrrev_i32_e32 v12, 31, v11
	v_lshlrev_b64 v[26:27], 2, v[11:12]
	v_add_co_u32 v26, vcc_lo, s12, v26
	v_add_co_ci_u32_e64 v27, null, s13, v27, vcc_lo
	global_load_dword v2, v[26:27], off
	s_waitcnt vmcnt(0)
	v_subrev_nc_u32_e32 v2, s37, v2
	v_cmpx_ne_u32_e64 v2, v1
	s_cbranch_execz .LBB38_38
; %bb.40:                               ;   in Loop: Header=BB38_39 Depth=3
	v_add_nc_u32_e32 v10, 1, v10
	s_andn2_b32 s45, s45, exec_lo
	s_andn2_b32 s44, s44, exec_lo
	v_cmp_ge_i32_e32 vcc_lo, v10, v25
	s_and_b32 s47, vcc_lo, exec_lo
	s_or_b32 s45, s45, s47
	s_branch .LBB38_38
.LBB38_41:                              ;   in Loop: Header=BB38_10 Depth=2
	s_inst_prefetch 0x2
	s_or_b32 exec_lo, exec_lo, s43
	s_and_saveexec_b32 s43, s42
	s_xor_b32 s42, exec_lo, s43
	s_cbranch_execz .LBB38_43
; %bb.42:                               ;   in Loop: Header=BB38_10 Depth=2
	v_lshlrev_b64 v[9:10], 3, v[11:12]
	v_add_co_u32 v9, vcc_lo, s14, v9
	v_add_co_ci_u32_e64 v10, null, s15, v10, vcc_lo
	global_load_dwordx2 v[9:10], v[9:10], off
	s_waitcnt vmcnt(0)
	v_add_f32_e32 v23, v23, v9
	v_add_f32_e32 v24, v24, v10
.LBB38_43:                              ;   in Loop: Header=BB38_10 Depth=2
	s_or_b32 exec_lo, exec_lo, s42
	s_or_b32 exec_lo, exec_lo, s1
	s_mov_b32 s1, exec_lo
	v_cmpx_eq_u32_e64 v1, v7
	s_cbranch_execnz .LBB38_21
	s_branch .LBB38_22
.LBB38_44:
	s_or_b32 exec_lo, exec_lo, s38
.LBB38_45:
	s_or_b32 exec_lo, exec_lo, s33
.LBB38_46:
	s_or_b32 exec_lo, exec_lo, s6
	v_mbcnt_lo_u32_b32 v1, -1, 0
	s_mov_b32 s0, exec_lo
	v_xor_b32_e32 v2, 4, v1
	v_xor_b32_e32 v3, 2, v1
	;; [unrolled: 1-line block ×3, first 2 shown]
	v_cmp_gt_i32_e32 vcc_lo, 32, v2
	v_cndmask_b32_e32 v2, v1, v2, vcc_lo
	v_cmp_gt_i32_e32 vcc_lo, 32, v3
	v_lshlrev_b32_e32 v2, 2, v2
	v_cndmask_b32_e32 v3, v1, v3, vcc_lo
	ds_bpermute_b32 v2, v2, v15
	v_lshlrev_b32_e32 v3, 2, v3
	s_waitcnt lgkmcnt(0)
	v_cmp_lt_f32_e32 vcc_lo, v15, v2
	v_cndmask_b32_e32 v2, v15, v2, vcc_lo
	v_cmp_gt_i32_e32 vcc_lo, 32, v4
	ds_bpermute_b32 v3, v3, v2
	v_cndmask_b32_e32 v4, v1, v4, vcc_lo
	s_waitcnt lgkmcnt(0)
	v_cmp_lt_f32_e32 vcc_lo, v2, v3
	v_cndmask_b32_e32 v1, v2, v3, vcc_lo
	v_lshlrev_b32_e32 v2, 2, v4
	ds_bpermute_b32 v2, v2, v1
	v_cmpx_eq_u32_e32 7, v14
	s_cbranch_execz .LBB38_48
; %bb.47:
	s_waitcnt lgkmcnt(0)
	v_cmp_lt_f32_e32 vcc_lo, v1, v2
	v_lshlrev_b32_e32 v3, 2, v13
	v_cndmask_b32_e32 v1, v1, v2, vcc_lo
	ds_write_b32 v3, v1
.LBB38_48:
	s_or_b32 exec_lo, exec_lo, s0
	v_lshlrev_b32_e32 v1, 2, v0
	s_mov_b32 s0, exec_lo
	s_waitcnt lgkmcnt(0)
	s_barrier
	buffer_gl0_inv
	v_cmpx_gt_u32_e32 64, v0
	s_cbranch_execz .LBB38_50
; %bb.49:
	ds_read2st64_b32 v[2:3], v1 offset1:1
	s_waitcnt lgkmcnt(0)
	v_cmp_lt_f32_e32 vcc_lo, v2, v3
	v_cndmask_b32_e32 v2, v2, v3, vcc_lo
	ds_write_b32 v1, v2
.LBB38_50:
	s_or_b32 exec_lo, exec_lo, s0
	s_mov_b32 s0, exec_lo
	s_waitcnt lgkmcnt(0)
	s_barrier
	buffer_gl0_inv
	v_cmpx_gt_u32_e32 32, v0
	s_cbranch_execz .LBB38_52
; %bb.51:
	ds_read2_b32 v[2:3], v1 offset1:32
	s_waitcnt lgkmcnt(0)
	v_cmp_lt_f32_e32 vcc_lo, v2, v3
	v_cndmask_b32_e32 v2, v2, v3, vcc_lo
	ds_write_b32 v1, v2
.LBB38_52:
	s_or_b32 exec_lo, exec_lo, s0
	s_mov_b32 s0, exec_lo
	s_waitcnt lgkmcnt(0)
	s_barrier
	buffer_gl0_inv
	v_cmpx_gt_u32_e32 16, v0
	s_cbranch_execz .LBB38_54
; %bb.53:
	ds_read2_b32 v[2:3], v1 offset1:16
	s_waitcnt lgkmcnt(0)
	v_cmp_lt_f32_e32 vcc_lo, v2, v3
	v_cndmask_b32_e32 v2, v2, v3, vcc_lo
	ds_write_b32 v1, v2
.LBB38_54:
	;; [unrolled: 14-line block ×5, first 2 shown]
	s_or_b32 exec_lo, exec_lo, s0
	v_cmp_eq_u32_e32 vcc_lo, 0, v0
	s_waitcnt lgkmcnt(0)
	s_barrier
	buffer_gl0_inv
	s_and_saveexec_b32 s1, vcc_lo
	s_cbranch_execz .LBB38_62
; %bb.61:
	v_mov_b32_e32 v2, 0
	ds_read_b64 v[0:1], v2
	s_waitcnt lgkmcnt(0)
	v_cmp_lt_f32_e64 s0, v0, v1
	v_cndmask_b32_e64 v0, v0, v1, s0
	ds_write_b32 v2, v0
.LBB38_62:
	s_or_b32 exec_lo, exec_lo, s1
	s_waitcnt lgkmcnt(0)
	s_barrier
	buffer_gl0_inv
	s_and_saveexec_b32 s0, vcc_lo
	s_cbranch_execz .LBB38_66
; %bb.63:
	v_mbcnt_lo_u32_b32 v0, exec_lo, 0
	s_mov_b32 s6, 0
	v_cmp_eq_u32_e32 vcc_lo, 0, v0
	s_and_b32 exec_lo, exec_lo, vcc_lo
	s_cbranch_execz .LBB38_66
; %bb.64:
	s_load_dwordx4 s[0:3], s[4:5], 0x88
	v_mov_b32_e32 v2, 0
	ds_read_b32 v0, v2
	s_waitcnt lgkmcnt(0)
	s_load_dword s2, s[2:3], 0x0
	s_load_dword s3, s[0:1], 0x0
	s_waitcnt lgkmcnt(0)
	v_div_scale_f32 v1, null, s2, s2, v0
	v_rcp_f32_e32 v3, v1
	v_fma_f32 v4, -v1, v3, 1.0
	v_fmac_f32_e32 v3, v4, v3
	v_div_scale_f32 v4, vcc_lo, v0, s2, v0
	v_mul_f32_e32 v5, v4, v3
	v_fma_f32 v6, -v1, v5, v4
	v_fmac_f32_e32 v5, v6, v3
	v_fma_f32 v1, -v1, v5, v4
	v_div_fmas_f32 v1, v1, v3, v5
	v_div_fixup_f32 v0, v1, s2, v0
	v_mov_b32_e32 v1, s3
	v_max_f32_e32 v3, v0, v0
.LBB38_65:                              ; =>This Inner Loop Header: Depth=1
	v_max_f32_e32 v0, v1, v1
	v_max_f32_e32 v0, v0, v3
	global_atomic_cmpswap v0, v2, v[0:1], s[0:1] glc
	s_waitcnt vmcnt(0)
	v_cmp_eq_u32_e32 vcc_lo, v0, v1
	v_mov_b32_e32 v1, v0
	s_or_b32 s6, vcc_lo, s6
	s_andn2_b32 exec_lo, exec_lo, s6
	s_cbranch_execnz .LBB38_65
.LBB38_66:
	s_endpgm
	.section	.rodata,"a",@progbits
	.p2align	6, 0x0
	.amdhsa_kernel _ZN9rocsparseL19kernel_nrm_residualILi1024ELi8E21rocsparse_complex_numIfEiiEEvT3_T2_PKS4_S6_PKS3_PKT1_21rocsparse_index_base_S6_S6_S8_SB_SC_S6_S6_S8_SB_SC_SB_PNS_15floating_traitsIS9_E6data_tEPKSF_
		.amdhsa_group_segment_fixed_size 512
		.amdhsa_private_segment_fixed_size 0
		.amdhsa_kernarg_size 152
		.amdhsa_user_sgpr_count 6
		.amdhsa_user_sgpr_private_segment_buffer 1
		.amdhsa_user_sgpr_dispatch_ptr 0
		.amdhsa_user_sgpr_queue_ptr 0
		.amdhsa_user_sgpr_kernarg_segment_ptr 1
		.amdhsa_user_sgpr_dispatch_id 0
		.amdhsa_user_sgpr_flat_scratch_init 0
		.amdhsa_user_sgpr_private_segment_size 0
		.amdhsa_wavefront_size32 1
		.amdhsa_uses_dynamic_stack 0
		.amdhsa_system_sgpr_private_segment_wavefront_offset 0
		.amdhsa_system_sgpr_workgroup_id_x 1
		.amdhsa_system_sgpr_workgroup_id_y 0
		.amdhsa_system_sgpr_workgroup_id_z 0
		.amdhsa_system_sgpr_workgroup_info 0
		.amdhsa_system_vgpr_workitem_id 0
		.amdhsa_next_free_vgpr 35
		.amdhsa_next_free_sgpr 49
		.amdhsa_reserve_vcc 1
		.amdhsa_reserve_flat_scratch 0
		.amdhsa_float_round_mode_32 0
		.amdhsa_float_round_mode_16_64 0
		.amdhsa_float_denorm_mode_32 3
		.amdhsa_float_denorm_mode_16_64 3
		.amdhsa_dx10_clamp 1
		.amdhsa_ieee_mode 1
		.amdhsa_fp16_overflow 0
		.amdhsa_workgroup_processor_mode 1
		.amdhsa_memory_ordered 1
		.amdhsa_forward_progress 1
		.amdhsa_shared_vgpr_count 0
		.amdhsa_exception_fp_ieee_invalid_op 0
		.amdhsa_exception_fp_denorm_src 0
		.amdhsa_exception_fp_ieee_div_zero 0
		.amdhsa_exception_fp_ieee_overflow 0
		.amdhsa_exception_fp_ieee_underflow 0
		.amdhsa_exception_fp_ieee_inexact 0
		.amdhsa_exception_int_div_zero 0
	.end_amdhsa_kernel
	.section	.text._ZN9rocsparseL19kernel_nrm_residualILi1024ELi8E21rocsparse_complex_numIfEiiEEvT3_T2_PKS4_S6_PKS3_PKT1_21rocsparse_index_base_S6_S6_S8_SB_SC_S6_S6_S8_SB_SC_SB_PNS_15floating_traitsIS9_E6data_tEPKSF_,"axG",@progbits,_ZN9rocsparseL19kernel_nrm_residualILi1024ELi8E21rocsparse_complex_numIfEiiEEvT3_T2_PKS4_S6_PKS3_PKT1_21rocsparse_index_base_S6_S6_S8_SB_SC_S6_S6_S8_SB_SC_SB_PNS_15floating_traitsIS9_E6data_tEPKSF_,comdat
.Lfunc_end38:
	.size	_ZN9rocsparseL19kernel_nrm_residualILi1024ELi8E21rocsparse_complex_numIfEiiEEvT3_T2_PKS4_S6_PKS3_PKT1_21rocsparse_index_base_S6_S6_S8_SB_SC_S6_S6_S8_SB_SC_SB_PNS_15floating_traitsIS9_E6data_tEPKSF_, .Lfunc_end38-_ZN9rocsparseL19kernel_nrm_residualILi1024ELi8E21rocsparse_complex_numIfEiiEEvT3_T2_PKS4_S6_PKS3_PKT1_21rocsparse_index_base_S6_S6_S8_SB_SC_S6_S6_S8_SB_SC_SB_PNS_15floating_traitsIS9_E6data_tEPKSF_
                                        ; -- End function
	.set _ZN9rocsparseL19kernel_nrm_residualILi1024ELi8E21rocsparse_complex_numIfEiiEEvT3_T2_PKS4_S6_PKS3_PKT1_21rocsparse_index_base_S6_S6_S8_SB_SC_S6_S6_S8_SB_SC_SB_PNS_15floating_traitsIS9_E6data_tEPKSF_.num_vgpr, 35
	.set _ZN9rocsparseL19kernel_nrm_residualILi1024ELi8E21rocsparse_complex_numIfEiiEEvT3_T2_PKS4_S6_PKS3_PKT1_21rocsparse_index_base_S6_S6_S8_SB_SC_S6_S6_S8_SB_SC_SB_PNS_15floating_traitsIS9_E6data_tEPKSF_.num_agpr, 0
	.set _ZN9rocsparseL19kernel_nrm_residualILi1024ELi8E21rocsparse_complex_numIfEiiEEvT3_T2_PKS4_S6_PKS3_PKT1_21rocsparse_index_base_S6_S6_S8_SB_SC_S6_S6_S8_SB_SC_SB_PNS_15floating_traitsIS9_E6data_tEPKSF_.numbered_sgpr, 49
	.set _ZN9rocsparseL19kernel_nrm_residualILi1024ELi8E21rocsparse_complex_numIfEiiEEvT3_T2_PKS4_S6_PKS3_PKT1_21rocsparse_index_base_S6_S6_S8_SB_SC_S6_S6_S8_SB_SC_SB_PNS_15floating_traitsIS9_E6data_tEPKSF_.num_named_barrier, 0
	.set _ZN9rocsparseL19kernel_nrm_residualILi1024ELi8E21rocsparse_complex_numIfEiiEEvT3_T2_PKS4_S6_PKS3_PKT1_21rocsparse_index_base_S6_S6_S8_SB_SC_S6_S6_S8_SB_SC_SB_PNS_15floating_traitsIS9_E6data_tEPKSF_.private_seg_size, 0
	.set _ZN9rocsparseL19kernel_nrm_residualILi1024ELi8E21rocsparse_complex_numIfEiiEEvT3_T2_PKS4_S6_PKS3_PKT1_21rocsparse_index_base_S6_S6_S8_SB_SC_S6_S6_S8_SB_SC_SB_PNS_15floating_traitsIS9_E6data_tEPKSF_.uses_vcc, 1
	.set _ZN9rocsparseL19kernel_nrm_residualILi1024ELi8E21rocsparse_complex_numIfEiiEEvT3_T2_PKS4_S6_PKS3_PKT1_21rocsparse_index_base_S6_S6_S8_SB_SC_S6_S6_S8_SB_SC_SB_PNS_15floating_traitsIS9_E6data_tEPKSF_.uses_flat_scratch, 0
	.set _ZN9rocsparseL19kernel_nrm_residualILi1024ELi8E21rocsparse_complex_numIfEiiEEvT3_T2_PKS4_S6_PKS3_PKT1_21rocsparse_index_base_S6_S6_S8_SB_SC_S6_S6_S8_SB_SC_SB_PNS_15floating_traitsIS9_E6data_tEPKSF_.has_dyn_sized_stack, 0
	.set _ZN9rocsparseL19kernel_nrm_residualILi1024ELi8E21rocsparse_complex_numIfEiiEEvT3_T2_PKS4_S6_PKS3_PKT1_21rocsparse_index_base_S6_S6_S8_SB_SC_S6_S6_S8_SB_SC_SB_PNS_15floating_traitsIS9_E6data_tEPKSF_.has_recursion, 0
	.set _ZN9rocsparseL19kernel_nrm_residualILi1024ELi8E21rocsparse_complex_numIfEiiEEvT3_T2_PKS4_S6_PKS3_PKT1_21rocsparse_index_base_S6_S6_S8_SB_SC_S6_S6_S8_SB_SC_SB_PNS_15floating_traitsIS9_E6data_tEPKSF_.has_indirect_call, 0
	.section	.AMDGPU.csdata,"",@progbits
; Kernel info:
; codeLenInByte = 3016
; TotalNumSgprs: 51
; NumVgprs: 35
; ScratchSize: 0
; MemoryBound: 0
; FloatMode: 240
; IeeeMode: 1
; LDSByteSize: 512 bytes/workgroup (compile time only)
; SGPRBlocks: 0
; VGPRBlocks: 4
; NumSGPRsForWavesPerEU: 51
; NumVGPRsForWavesPerEU: 35
; Occupancy: 16
; WaveLimiterHint : 1
; COMPUTE_PGM_RSRC2:SCRATCH_EN: 0
; COMPUTE_PGM_RSRC2:USER_SGPR: 6
; COMPUTE_PGM_RSRC2:TRAP_HANDLER: 0
; COMPUTE_PGM_RSRC2:TGID_X_EN: 1
; COMPUTE_PGM_RSRC2:TGID_Y_EN: 0
; COMPUTE_PGM_RSRC2:TGID_Z_EN: 0
; COMPUTE_PGM_RSRC2:TIDIG_COMP_CNT: 0
	.section	.text._ZN9rocsparseL19kernel_nrm_residualILi1024ELi16E21rocsparse_complex_numIfEiiEEvT3_T2_PKS4_S6_PKS3_PKT1_21rocsparse_index_base_S6_S6_S8_SB_SC_S6_S6_S8_SB_SC_SB_PNS_15floating_traitsIS9_E6data_tEPKSF_,"axG",@progbits,_ZN9rocsparseL19kernel_nrm_residualILi1024ELi16E21rocsparse_complex_numIfEiiEEvT3_T2_PKS4_S6_PKS3_PKT1_21rocsparse_index_base_S6_S6_S8_SB_SC_S6_S6_S8_SB_SC_SB_PNS_15floating_traitsIS9_E6data_tEPKSF_,comdat
	.globl	_ZN9rocsparseL19kernel_nrm_residualILi1024ELi16E21rocsparse_complex_numIfEiiEEvT3_T2_PKS4_S6_PKS3_PKT1_21rocsparse_index_base_S6_S6_S8_SB_SC_S6_S6_S8_SB_SC_SB_PNS_15floating_traitsIS9_E6data_tEPKSF_ ; -- Begin function _ZN9rocsparseL19kernel_nrm_residualILi1024ELi16E21rocsparse_complex_numIfEiiEEvT3_T2_PKS4_S6_PKS3_PKT1_21rocsparse_index_base_S6_S6_S8_SB_SC_S6_S6_S8_SB_SC_SB_PNS_15floating_traitsIS9_E6data_tEPKSF_
	.p2align	8
	.type	_ZN9rocsparseL19kernel_nrm_residualILi1024ELi16E21rocsparse_complex_numIfEiiEEvT3_T2_PKS4_S6_PKS3_PKT1_21rocsparse_index_base_S6_S6_S8_SB_SC_S6_S6_S8_SB_SC_SB_PNS_15floating_traitsIS9_E6data_tEPKSF_,@function
_ZN9rocsparseL19kernel_nrm_residualILi1024ELi16E21rocsparse_complex_numIfEiiEEvT3_T2_PKS4_S6_PKS3_PKT1_21rocsparse_index_base_S6_S6_S8_SB_SC_S6_S6_S8_SB_SC_SB_PNS_15floating_traitsIS9_E6data_tEPKSF_: ; @_ZN9rocsparseL19kernel_nrm_residualILi1024ELi16E21rocsparse_complex_numIfEiiEEvT3_T2_PKS4_S6_PKS3_PKT1_21rocsparse_index_base_S6_S6_S8_SB_SC_S6_S6_S8_SB_SC_SB_PNS_15floating_traitsIS9_E6data_tEPKSF_
; %bb.0:
	s_load_dword s7, s[4:5], 0x0
	v_lshrrev_b32_e32 v13, 4, v0
	s_lshl_b32 s34, s6, 10
	v_and_b32_e32 v14, 15, v0
	v_mov_b32_e32 v15, 0
	s_mov_b32 s6, exec_lo
	v_or_b32_e32 v1, s34, v13
	s_waitcnt lgkmcnt(0)
	v_cmpx_gt_i32_e64 s7, v1
	s_cbranch_execz .LBB39_46
; %bb.1:
	v_mov_b32_e32 v15, 0
	s_addk_i32 s34, 0x400
	s_mov_b32 s33, exec_lo
	v_cmpx_gt_u32_e64 s34, v1
	s_cbranch_execz .LBB39_45
; %bb.2:
	s_clause 0x6
	s_load_dword s35, s[4:5], 0x28
	s_load_dwordx8 s[8:15], s[4:5], 0x58
	s_load_dwordx8 s[16:23], s[4:5], 0x30
	;; [unrolled: 1-line block ×3, first 2 shown]
	s_load_dword s36, s[4:5], 0x50
	s_load_dwordx2 s[2:3], s[4:5], 0x80
	s_load_dword s37, s[4:5], 0x78
	v_mov_b32_e32 v3, 0
	v_mov_b32_e32 v15, 0
	s_mov_b32 s38, 0
	s_waitcnt lgkmcnt(0)
	v_subrev_nc_u32_e32 v16, s35, v14
	s_branch .LBB39_6
.LBB39_3:                               ;   in Loop: Header=BB39_6 Depth=1
	s_or_b32 exec_lo, exec_lo, s41
.LBB39_4:                               ;   in Loop: Header=BB39_6 Depth=1
	s_or_b32 exec_lo, exec_lo, s40
.LBB39_5:                               ;   in Loop: Header=BB39_6 Depth=1
	s_or_b32 exec_lo, exec_lo, s39
	v_add_nc_u32_e32 v1, 64, v1
	v_cmp_le_u32_e32 vcc_lo, s34, v1
	s_or_b32 s38, vcc_lo, s38
	s_andn2_b32 exec_lo, exec_lo, s38
	s_cbranch_execz .LBB39_44
.LBB39_6:                               ; =>This Loop Header: Depth=1
                                        ;     Child Loop BB39_10 Depth 2
                                        ;       Child Loop BB39_14 Depth 3
                                        ;       Child Loop BB39_31 Depth 3
                                        ;       Child Loop BB39_39 Depth 3
	s_mov_b32 s39, exec_lo
	v_cmpx_gt_i32_e64 s7, v1
	s_cbranch_execz .LBB39_5
; %bb.7:                                ;   in Loop: Header=BB39_6 Depth=1
	v_ashrrev_i32_e32 v2, 31, v1
	s_mov_b32 s40, exec_lo
	v_lshlrev_b64 v[5:6], 2, v[1:2]
	v_add_co_u32 v7, vcc_lo, s24, v5
	v_add_co_ci_u32_e64 v8, null, s25, v6, vcc_lo
	v_add_co_u32 v9, vcc_lo, s26, v5
	v_add_co_ci_u32_e64 v10, null, s27, v6, vcc_lo
	global_load_dword v2, v[7:8], off
	global_load_dword v7, v[9:10], off
	s_waitcnt vmcnt(1)
	v_add_nc_u32_e32 v4, v16, v2
	s_waitcnt vmcnt(0)
	v_subrev_nc_u32_e32 v17, s35, v7
	v_cmpx_lt_i32_e64 v4, v17
	s_cbranch_execz .LBB39_4
; %bb.8:                                ;   in Loop: Header=BB39_6 Depth=1
	v_add_co_u32 v7, vcc_lo, s16, v5
	v_add_co_ci_u32_e64 v8, null, s17, v6, vcc_lo
	v_add_co_u32 v5, vcc_lo, s18, v5
	v_add_co_ci_u32_e64 v6, null, s19, v6, vcc_lo
	global_load_dword v2, v[7:8], off
	s_mov_b32 s41, 0
	global_load_dword v5, v[5:6], off
	s_waitcnt vmcnt(1)
	v_subrev_nc_u32_e32 v6, s36, v2
	s_waitcnt vmcnt(0)
	v_sub_nc_u32_e32 v18, v5, v2
	v_ashrrev_i32_e32 v7, 31, v6
	v_cmp_lt_i32_e64 s0, 0, v18
	v_lshlrev_b64 v[8:9], 2, v[6:7]
	v_lshlrev_b64 v[10:11], 3, v[6:7]
	v_add_co_u32 v19, vcc_lo, s20, v8
	v_add_co_ci_u32_e64 v20, null, s21, v9, vcc_lo
	v_add_co_u32 v21, vcc_lo, s22, v10
	v_add_co_ci_u32_e64 v22, null, s23, v11, vcc_lo
	s_branch .LBB39_10
.LBB39_9:                               ;   in Loop: Header=BB39_10 Depth=2
	s_or_b32 exec_lo, exec_lo, s42
	v_add_nc_u32_e32 v4, 16, v4
	v_cmp_nlg_f32_e64 s42, 0x7f800000, |v7|
	v_cmp_gt_f32_e32 vcc_lo, v15, v7
	v_cmp_ge_i32_e64 s1, v4, v17
	s_or_b32 vcc_lo, s42, vcc_lo
	v_cndmask_b32_e32 v15, v7, v15, vcc_lo
	s_or_b32 s41, s1, s41
	s_andn2_b32 exec_lo, exec_lo, s41
	s_cbranch_execz .LBB39_3
.LBB39_10:                              ;   Parent Loop BB39_6 Depth=1
                                        ; =>  This Loop Header: Depth=2
                                        ;       Child Loop BB39_14 Depth 3
                                        ;       Child Loop BB39_31 Depth 3
	;; [unrolled: 1-line block ×3, first 2 shown]
	v_ashrrev_i32_e32 v5, 31, v4
	v_mov_b32_e32 v23, 0
	v_mov_b32_e32 v24, 0
	v_lshlrev_b64 v[7:8], 2, v[4:5]
	v_add_co_u32 v7, vcc_lo, s28, v7
	v_add_co_ci_u32_e64 v8, null, s29, v8, vcc_lo
	global_load_dword v2, v[7:8], off
	s_waitcnt vmcnt(0)
	v_subrev_nc_u32_e32 v7, s35, v2
	v_mov_b32_e32 v2, 0
	v_ashrrev_i32_e32 v8, 31, v7
	v_lshlrev_b64 v[9:10], 2, v[7:8]
	v_add_co_u32 v11, vcc_lo, s8, v9
	v_add_co_ci_u32_e64 v12, null, s9, v10, vcc_lo
	v_add_co_u32 v9, vcc_lo, s10, v9
	v_add_co_ci_u32_e64 v10, null, s11, v10, vcc_lo
	global_load_dword v11, v[11:12], off
	global_load_dword v10, v[9:10], off
	s_waitcnt vmcnt(1)
	v_subrev_nc_u32_e32 v9, s37, v11
	s_waitcnt vmcnt(0)
	v_sub_nc_u32_e32 v25, v10, v11
	v_mov_b32_e32 v10, v2
	s_and_saveexec_b32 s42, s0
	s_cbranch_execz .LBB39_18
; %bb.11:                               ;   in Loop: Header=BB39_10 Depth=2
	v_ashrrev_i32_e32 v10, 31, v9
	v_mov_b32_e32 v23, 0
	v_mov_b32_e32 v2, 0
	;; [unrolled: 1-line block ×3, first 2 shown]
	s_mov_b32 s43, 0
	v_lshlrev_b64 v[26:27], 2, v[9:10]
	v_lshlrev_b64 v[10:11], 3, v[9:10]
                                        ; implicit-def: $sgpr44
	v_add_co_u32 v12, vcc_lo, s12, v26
	v_add_co_ci_u32_e64 v26, null, s13, v27, vcc_lo
	v_add_co_u32 v27, vcc_lo, s14, v10
	v_add_co_ci_u32_e64 v28, null, s15, v11, vcc_lo
	v_mov_b32_e32 v10, 0
	s_branch .LBB39_14
.LBB39_12:                              ;   in Loop: Header=BB39_14 Depth=3
	s_or_b32 exec_lo, exec_lo, s1
	v_cmp_le_i32_e32 vcc_lo, v29, v30
	v_cmp_ge_i32_e64 s1, v29, v30
	v_add_co_ci_u32_e64 v2, null, 0, v2, vcc_lo
	v_add_co_ci_u32_e64 v10, null, 0, v10, s1
	s_andn2_b32 s1, s44, exec_lo
	v_cmp_ge_i32_e32 vcc_lo, v2, v18
	s_and_b32 s44, vcc_lo, exec_lo
	s_or_b32 s44, s1, s44
.LBB39_13:                              ;   in Loop: Header=BB39_14 Depth=3
	s_or_b32 exec_lo, exec_lo, s45
	s_and_b32 s1, exec_lo, s44
	s_or_b32 s43, s1, s43
	s_andn2_b32 exec_lo, exec_lo, s43
	s_cbranch_execz .LBB39_17
.LBB39_14:                              ;   Parent Loop BB39_6 Depth=1
                                        ;     Parent Loop BB39_10 Depth=2
                                        ; =>    This Inner Loop Header: Depth=3
	s_or_b32 s44, s44, exec_lo
	s_mov_b32 s45, exec_lo
	v_cmpx_lt_i32_e64 v10, v25
	s_cbranch_execz .LBB39_13
; %bb.15:                               ;   in Loop: Header=BB39_14 Depth=3
	v_mov_b32_e32 v11, v3
	v_lshlrev_b64 v[29:30], 2, v[2:3]
	s_mov_b32 s1, exec_lo
	v_lshlrev_b64 v[31:32], 2, v[10:11]
	v_add_co_u32 v29, vcc_lo, v19, v29
	v_add_co_ci_u32_e64 v30, null, v20, v30, vcc_lo
	v_add_co_u32 v31, vcc_lo, v12, v31
	v_add_co_ci_u32_e64 v32, null, v26, v32, vcc_lo
	global_load_dword v29, v[29:30], off
	global_load_dword v30, v[31:32], off
	s_waitcnt vmcnt(1)
	v_subrev_nc_u32_e32 v29, s36, v29
	s_waitcnt vmcnt(0)
	v_subrev_nc_u32_e32 v30, s37, v30
	v_cmpx_eq_u32_e64 v29, v30
	s_cbranch_execz .LBB39_12
; %bb.16:                               ;   in Loop: Header=BB39_14 Depth=3
	v_lshlrev_b64 v[31:32], 3, v[2:3]
	v_lshlrev_b64 v[33:34], 3, v[10:11]
	v_add_co_u32 v31, vcc_lo, v21, v31
	v_add_co_ci_u32_e64 v32, null, v22, v32, vcc_lo
	v_add_co_u32 v33, vcc_lo, v27, v33
	v_add_co_ci_u32_e64 v34, null, v28, v34, vcc_lo
	global_load_dwordx2 v[31:32], v[31:32], off
	global_load_dwordx2 v[33:34], v[33:34], off
	s_waitcnt vmcnt(0)
	v_fmac_f32_e32 v23, v31, v33
	v_fmac_f32_e32 v24, v32, v33
	v_fma_f32 v23, -v32, v34, v23
	v_fmac_f32_e32 v24, v31, v34
	s_branch .LBB39_12
.LBB39_17:                              ;   in Loop: Header=BB39_10 Depth=2
	s_or_b32 exec_lo, exec_lo, s43
.LBB39_18:                              ;   in Loop: Header=BB39_10 Depth=2
	s_or_b32 exec_lo, exec_lo, s42
	s_mov_b32 s1, exec_lo
	v_cmpx_ge_i32_e64 v10, v25
	s_xor_b32 s1, exec_lo, s1
	s_cbranch_execnz .LBB39_28
; %bb.19:                               ;   in Loop: Header=BB39_10 Depth=2
	s_andn2_saveexec_b32 s1, s1
	s_cbranch_execnz .LBB39_37
.LBB39_20:                              ;   in Loop: Header=BB39_10 Depth=2
	s_or_b32 exec_lo, exec_lo, s1
	s_mov_b32 s1, exec_lo
	v_cmpx_eq_u32_e64 v1, v7
	s_cbranch_execz .LBB39_22
.LBB39_21:                              ;   in Loop: Header=BB39_10 Depth=2
	v_lshlrev_b64 v[7:8], 3, v[7:8]
	v_add_co_u32 v7, vcc_lo, s2, v7
	v_add_co_ci_u32_e64 v8, null, s3, v8, vcc_lo
	global_load_dwordx2 v[7:8], v[7:8], off
	s_waitcnt vmcnt(0)
	v_add_f32_e32 v23, v23, v7
	v_add_f32_e32 v24, v24, v8
.LBB39_22:                              ;   in Loop: Header=BB39_10 Depth=2
	s_or_b32 exec_lo, exec_lo, s1
	v_lshlrev_b64 v[7:8], 3, v[4:5]
	s_mov_b32 s1, exec_lo
	v_add_co_u32 v7, vcc_lo, s30, v7
	v_add_co_ci_u32_e64 v8, null, s31, v8, vcc_lo
	global_load_dwordx2 v[7:8], v[7:8], off
	s_waitcnt vmcnt(0)
	v_sub_f32_e32 v2, v7, v23
	v_sub_f32_e32 v8, v8, v24
                                        ; implicit-def: $vgpr7
	v_cmp_gt_f32_e32 vcc_lo, 0, v2
	v_cndmask_b32_e64 v2, v2, -v2, vcc_lo
	v_cmp_gt_f32_e32 vcc_lo, 0, v8
	v_cndmask_b32_e64 v5, v8, -v8, vcc_lo
	v_cmpx_ngt_f32_e32 v2, v5
	s_xor_b32 s42, exec_lo, s1
	s_cbranch_execz .LBB39_26
; %bb.23:                               ;   in Loop: Header=BB39_10 Depth=2
	v_mov_b32_e32 v7, 0
	s_mov_b32 s43, exec_lo
	v_cmpx_neq_f32_e32 0, v8
	s_cbranch_execz .LBB39_25
; %bb.24:                               ;   in Loop: Header=BB39_10 Depth=2
	v_div_scale_f32 v7, null, v5, v5, v2
	v_div_scale_f32 v10, vcc_lo, v2, v5, v2
	v_rcp_f32_e32 v8, v7
	v_fma_f32 v9, -v7, v8, 1.0
	v_fmac_f32_e32 v8, v9, v8
	v_mul_f32_e32 v9, v10, v8
	v_fma_f32 v11, -v7, v9, v10
	v_fmac_f32_e32 v9, v11, v8
	v_fma_f32 v7, -v7, v9, v10
	v_div_fmas_f32 v7, v7, v8, v9
	v_div_fixup_f32 v2, v7, v5, v2
	v_fma_f32 v2, v2, v2, 1.0
	v_mul_f32_e32 v7, 0x4f800000, v2
	v_cmp_gt_f32_e32 vcc_lo, 0xf800000, v2
	v_cndmask_b32_e32 v2, v2, v7, vcc_lo
	v_sqrt_f32_e32 v7, v2
	v_add_nc_u32_e32 v8, -1, v7
	v_add_nc_u32_e32 v9, 1, v7
	v_fma_f32 v10, -v8, v7, v2
	v_fma_f32 v11, -v9, v7, v2
	v_cmp_ge_f32_e64 s1, 0, v10
	v_cndmask_b32_e64 v7, v7, v8, s1
	v_cmp_lt_f32_e64 s1, 0, v11
	v_cndmask_b32_e64 v7, v7, v9, s1
	v_mul_f32_e32 v8, 0x37800000, v7
	v_cndmask_b32_e32 v7, v7, v8, vcc_lo
	v_cmp_class_f32_e64 vcc_lo, v2, 0x260
	v_cndmask_b32_e32 v2, v7, v2, vcc_lo
	v_mul_f32_e32 v7, v5, v2
.LBB39_25:                              ;   in Loop: Header=BB39_10 Depth=2
	s_or_b32 exec_lo, exec_lo, s43
                                        ; implicit-def: $vgpr2
                                        ; implicit-def: $vgpr5
.LBB39_26:                              ;   in Loop: Header=BB39_10 Depth=2
	s_andn2_saveexec_b32 s42, s42
	s_cbranch_execz .LBB39_9
; %bb.27:                               ;   in Loop: Header=BB39_10 Depth=2
	v_div_scale_f32 v7, null, v2, v2, v5
	v_div_scale_f32 v10, vcc_lo, v5, v2, v5
	v_rcp_f32_e32 v8, v7
	v_fma_f32 v9, -v7, v8, 1.0
	v_fmac_f32_e32 v8, v9, v8
	v_mul_f32_e32 v9, v10, v8
	v_fma_f32 v11, -v7, v9, v10
	v_fmac_f32_e32 v9, v11, v8
	v_fma_f32 v7, -v7, v9, v10
	v_div_fmas_f32 v7, v7, v8, v9
	v_div_fixup_f32 v5, v7, v2, v5
	v_fma_f32 v5, v5, v5, 1.0
	v_mul_f32_e32 v7, 0x4f800000, v5
	v_cmp_gt_f32_e32 vcc_lo, 0xf800000, v5
	v_cndmask_b32_e32 v5, v5, v7, vcc_lo
	v_sqrt_f32_e32 v7, v5
	v_add_nc_u32_e32 v8, -1, v7
	v_add_nc_u32_e32 v9, 1, v7
	v_fma_f32 v10, -v8, v7, v5
	v_fma_f32 v11, -v9, v7, v5
	v_cmp_ge_f32_e64 s1, 0, v10
	v_cndmask_b32_e64 v7, v7, v8, s1
	v_cmp_lt_f32_e64 s1, 0, v11
	v_cndmask_b32_e64 v7, v7, v9, s1
	v_mul_f32_e32 v8, 0x37800000, v7
	v_cndmask_b32_e32 v7, v7, v8, vcc_lo
	v_cmp_class_f32_e64 vcc_lo, v5, 0x260
	v_cndmask_b32_e32 v5, v7, v5, vcc_lo
	v_mul_f32_e32 v7, v2, v5
	s_branch .LBB39_9
.LBB39_28:                              ;   in Loop: Header=BB39_10 Depth=2
	s_mov_b32 s42, exec_lo
	v_cmpx_lt_i32_e64 v2, v18
	s_cbranch_execz .LBB39_36
; %bb.29:                               ;   in Loop: Header=BB39_10 Depth=2
	s_mov_b32 s44, 0
                                        ; implicit-def: $sgpr43
                                        ; implicit-def: $sgpr46
                                        ; implicit-def: $sgpr45
	s_inst_prefetch 0x1
	s_branch .LBB39_31
	.p2align	6
.LBB39_30:                              ;   in Loop: Header=BB39_31 Depth=3
	s_or_b32 exec_lo, exec_lo, s47
	s_and_b32 s47, exec_lo, s46
	s_or_b32 s44, s47, s44
	s_andn2_b32 s43, s43, exec_lo
	s_and_b32 s47, s45, exec_lo
	s_or_b32 s43, s43, s47
	s_andn2_b32 exec_lo, exec_lo, s44
	s_cbranch_execz .LBB39_33
.LBB39_31:                              ;   Parent Loop BB39_6 Depth=1
                                        ;     Parent Loop BB39_10 Depth=2
                                        ; =>    This Inner Loop Header: Depth=3
	v_add_nc_u32_e32 v9, v6, v2
	s_or_b32 s45, s45, exec_lo
	s_or_b32 s46, s46, exec_lo
	s_mov_b32 s47, exec_lo
	v_ashrrev_i32_e32 v10, 31, v9
	v_lshlrev_b64 v[11:12], 2, v[9:10]
	v_add_co_u32 v11, vcc_lo, s20, v11
	v_add_co_ci_u32_e64 v12, null, s21, v12, vcc_lo
	global_load_dword v11, v[11:12], off
	s_waitcnt vmcnt(0)
	v_subrev_nc_u32_e32 v11, s36, v11
	v_cmpx_ne_u32_e64 v11, v7
	s_cbranch_execz .LBB39_30
; %bb.32:                               ;   in Loop: Header=BB39_31 Depth=3
	v_add_nc_u32_e32 v2, 1, v2
	s_andn2_b32 s46, s46, exec_lo
	s_andn2_b32 s45, s45, exec_lo
	v_cmp_ge_i32_e32 vcc_lo, v2, v18
	s_and_b32 s48, vcc_lo, exec_lo
	s_or_b32 s46, s46, s48
	s_branch .LBB39_30
.LBB39_33:                              ;   in Loop: Header=BB39_10 Depth=2
	s_inst_prefetch 0x2
	s_or_b32 exec_lo, exec_lo, s44
	s_and_saveexec_b32 s44, s43
	s_xor_b32 s43, exec_lo, s44
	s_cbranch_execz .LBB39_35
; %bb.34:                               ;   in Loop: Header=BB39_10 Depth=2
	v_lshlrev_b64 v[9:10], 3, v[9:10]
	v_lshlrev_b64 v[11:12], 3, v[7:8]
	v_add_co_u32 v9, vcc_lo, s22, v9
	v_add_co_ci_u32_e64 v10, null, s23, v10, vcc_lo
	v_add_co_u32 v11, vcc_lo, s2, v11
	v_add_co_ci_u32_e64 v12, null, s3, v12, vcc_lo
	global_load_dwordx2 v[9:10], v[9:10], off
	global_load_dwordx2 v[11:12], v[11:12], off
	s_waitcnt vmcnt(0)
	v_mul_f32_e64 v2, v12, -v10
	v_mul_f32_e32 v12, v12, v9
	v_fmac_f32_e32 v2, v9, v11
	v_fmac_f32_e32 v12, v10, v11
	v_add_f32_e32 v23, v23, v2
	v_add_f32_e32 v24, v24, v12
.LBB39_35:                              ;   in Loop: Header=BB39_10 Depth=2
	s_or_b32 exec_lo, exec_lo, s43
.LBB39_36:                              ;   in Loop: Header=BB39_10 Depth=2
	s_or_b32 exec_lo, exec_lo, s42
                                        ; implicit-def: $vgpr10
                                        ; implicit-def: $vgpr9
                                        ; implicit-def: $vgpr25
	s_andn2_saveexec_b32 s1, s1
	s_cbranch_execz .LBB39_20
.LBB39_37:                              ;   in Loop: Header=BB39_10 Depth=2
	s_mov_b32 s43, 0
                                        ; implicit-def: $sgpr42
                                        ; implicit-def: $sgpr45
                                        ; implicit-def: $sgpr44
	s_inst_prefetch 0x1
	s_branch .LBB39_39
	.p2align	6
.LBB39_38:                              ;   in Loop: Header=BB39_39 Depth=3
	s_or_b32 exec_lo, exec_lo, s46
	s_and_b32 s46, exec_lo, s45
	s_or_b32 s43, s46, s43
	s_andn2_b32 s42, s42, exec_lo
	s_and_b32 s46, s44, exec_lo
	s_or_b32 s42, s42, s46
	s_andn2_b32 exec_lo, exec_lo, s43
	s_cbranch_execz .LBB39_41
.LBB39_39:                              ;   Parent Loop BB39_6 Depth=1
                                        ;     Parent Loop BB39_10 Depth=2
                                        ; =>    This Inner Loop Header: Depth=3
	v_add_nc_u32_e32 v11, v9, v10
	s_or_b32 s44, s44, exec_lo
	s_or_b32 s45, s45, exec_lo
	s_mov_b32 s46, exec_lo
	v_ashrrev_i32_e32 v12, 31, v11
	v_lshlrev_b64 v[26:27], 2, v[11:12]
	v_add_co_u32 v26, vcc_lo, s12, v26
	v_add_co_ci_u32_e64 v27, null, s13, v27, vcc_lo
	global_load_dword v2, v[26:27], off
	s_waitcnt vmcnt(0)
	v_subrev_nc_u32_e32 v2, s37, v2
	v_cmpx_ne_u32_e64 v2, v1
	s_cbranch_execz .LBB39_38
; %bb.40:                               ;   in Loop: Header=BB39_39 Depth=3
	v_add_nc_u32_e32 v10, 1, v10
	s_andn2_b32 s45, s45, exec_lo
	s_andn2_b32 s44, s44, exec_lo
	v_cmp_ge_i32_e32 vcc_lo, v10, v25
	s_and_b32 s47, vcc_lo, exec_lo
	s_or_b32 s45, s45, s47
	s_branch .LBB39_38
.LBB39_41:                              ;   in Loop: Header=BB39_10 Depth=2
	s_inst_prefetch 0x2
	s_or_b32 exec_lo, exec_lo, s43
	s_and_saveexec_b32 s43, s42
	s_xor_b32 s42, exec_lo, s43
	s_cbranch_execz .LBB39_43
; %bb.42:                               ;   in Loop: Header=BB39_10 Depth=2
	v_lshlrev_b64 v[9:10], 3, v[11:12]
	v_add_co_u32 v9, vcc_lo, s14, v9
	v_add_co_ci_u32_e64 v10, null, s15, v10, vcc_lo
	global_load_dwordx2 v[9:10], v[9:10], off
	s_waitcnt vmcnt(0)
	v_add_f32_e32 v23, v23, v9
	v_add_f32_e32 v24, v24, v10
.LBB39_43:                              ;   in Loop: Header=BB39_10 Depth=2
	s_or_b32 exec_lo, exec_lo, s42
	s_or_b32 exec_lo, exec_lo, s1
	s_mov_b32 s1, exec_lo
	v_cmpx_eq_u32_e64 v1, v7
	s_cbranch_execnz .LBB39_21
	s_branch .LBB39_22
.LBB39_44:
	s_or_b32 exec_lo, exec_lo, s38
.LBB39_45:
	s_or_b32 exec_lo, exec_lo, s33
.LBB39_46:
	s_or_b32 exec_lo, exec_lo, s6
	v_mbcnt_lo_u32_b32 v1, -1, 0
	s_mov_b32 s0, exec_lo
	v_xor_b32_e32 v2, 8, v1
	v_xor_b32_e32 v3, 4, v1
	;; [unrolled: 1-line block ×3, first 2 shown]
	v_cmp_gt_i32_e32 vcc_lo, 32, v2
	v_cndmask_b32_e32 v2, v1, v2, vcc_lo
	v_cmp_gt_i32_e32 vcc_lo, 32, v3
	v_lshlrev_b32_e32 v2, 2, v2
	v_cndmask_b32_e32 v3, v1, v3, vcc_lo
	ds_bpermute_b32 v2, v2, v15
	v_lshlrev_b32_e32 v3, 2, v3
	s_waitcnt lgkmcnt(0)
	v_cmp_lt_f32_e32 vcc_lo, v15, v2
	v_cndmask_b32_e32 v2, v15, v2, vcc_lo
	v_cmp_gt_i32_e32 vcc_lo, 32, v4
	ds_bpermute_b32 v3, v3, v2
	v_cndmask_b32_e32 v4, v1, v4, vcc_lo
	v_lshlrev_b32_e32 v4, 2, v4
	s_waitcnt lgkmcnt(0)
	v_cmp_lt_f32_e32 vcc_lo, v2, v3
	v_cndmask_b32_e32 v2, v2, v3, vcc_lo
	ds_bpermute_b32 v3, v4, v2
	v_xor_b32_e32 v4, 1, v1
	v_cmp_gt_i32_e32 vcc_lo, 32, v4
	v_cndmask_b32_e32 v4, v1, v4, vcc_lo
	s_waitcnt lgkmcnt(0)
	v_cmp_lt_f32_e32 vcc_lo, v2, v3
	v_cndmask_b32_e32 v1, v2, v3, vcc_lo
	v_lshlrev_b32_e32 v2, 2, v4
	ds_bpermute_b32 v2, v2, v1
	v_cmpx_eq_u32_e32 15, v14
	s_cbranch_execz .LBB39_48
; %bb.47:
	s_waitcnt lgkmcnt(0)
	v_cmp_lt_f32_e32 vcc_lo, v1, v2
	v_lshlrev_b32_e32 v3, 2, v13
	v_cndmask_b32_e32 v1, v1, v2, vcc_lo
	ds_write_b32 v3, v1
.LBB39_48:
	s_or_b32 exec_lo, exec_lo, s0
	v_lshlrev_b32_e32 v1, 2, v0
	s_mov_b32 s0, exec_lo
	s_waitcnt lgkmcnt(0)
	s_barrier
	buffer_gl0_inv
	v_cmpx_gt_u32_e32 32, v0
	s_cbranch_execz .LBB39_50
; %bb.49:
	ds_read2_b32 v[2:3], v1 offset1:32
	s_waitcnt lgkmcnt(0)
	v_cmp_lt_f32_e32 vcc_lo, v2, v3
	v_cndmask_b32_e32 v2, v2, v3, vcc_lo
	ds_write_b32 v1, v2
.LBB39_50:
	s_or_b32 exec_lo, exec_lo, s0
	s_mov_b32 s0, exec_lo
	s_waitcnt lgkmcnt(0)
	s_barrier
	buffer_gl0_inv
	v_cmpx_gt_u32_e32 16, v0
	s_cbranch_execz .LBB39_52
; %bb.51:
	ds_read2_b32 v[2:3], v1 offset1:16
	s_waitcnt lgkmcnt(0)
	v_cmp_lt_f32_e32 vcc_lo, v2, v3
	v_cndmask_b32_e32 v2, v2, v3, vcc_lo
	ds_write_b32 v1, v2
.LBB39_52:
	s_or_b32 exec_lo, exec_lo, s0
	;; [unrolled: 14-line block ×5, first 2 shown]
	v_cmp_eq_u32_e32 vcc_lo, 0, v0
	s_waitcnt lgkmcnt(0)
	s_barrier
	buffer_gl0_inv
	s_and_saveexec_b32 s1, vcc_lo
	s_cbranch_execz .LBB39_60
; %bb.59:
	v_mov_b32_e32 v2, 0
	ds_read_b64 v[0:1], v2
	s_waitcnt lgkmcnt(0)
	v_cmp_lt_f32_e64 s0, v0, v1
	v_cndmask_b32_e64 v0, v0, v1, s0
	ds_write_b32 v2, v0
.LBB39_60:
	s_or_b32 exec_lo, exec_lo, s1
	s_waitcnt lgkmcnt(0)
	s_barrier
	buffer_gl0_inv
	s_and_saveexec_b32 s0, vcc_lo
	s_cbranch_execz .LBB39_64
; %bb.61:
	v_mbcnt_lo_u32_b32 v0, exec_lo, 0
	s_mov_b32 s6, 0
	v_cmp_eq_u32_e32 vcc_lo, 0, v0
	s_and_b32 exec_lo, exec_lo, vcc_lo
	s_cbranch_execz .LBB39_64
; %bb.62:
	s_load_dwordx4 s[0:3], s[4:5], 0x88
	v_mov_b32_e32 v2, 0
	ds_read_b32 v0, v2
	s_waitcnt lgkmcnt(0)
	s_load_dword s2, s[2:3], 0x0
	s_load_dword s3, s[0:1], 0x0
	s_waitcnt lgkmcnt(0)
	v_div_scale_f32 v1, null, s2, s2, v0
	v_rcp_f32_e32 v3, v1
	v_fma_f32 v4, -v1, v3, 1.0
	v_fmac_f32_e32 v3, v4, v3
	v_div_scale_f32 v4, vcc_lo, v0, s2, v0
	v_mul_f32_e32 v5, v4, v3
	v_fma_f32 v6, -v1, v5, v4
	v_fmac_f32_e32 v5, v6, v3
	v_fma_f32 v1, -v1, v5, v4
	v_div_fmas_f32 v1, v1, v3, v5
	v_div_fixup_f32 v0, v1, s2, v0
	v_mov_b32_e32 v1, s3
	v_max_f32_e32 v3, v0, v0
.LBB39_63:                              ; =>This Inner Loop Header: Depth=1
	v_max_f32_e32 v0, v1, v1
	v_max_f32_e32 v0, v0, v3
	global_atomic_cmpswap v0, v2, v[0:1], s[0:1] glc
	s_waitcnt vmcnt(0)
	v_cmp_eq_u32_e32 vcc_lo, v0, v1
	v_mov_b32_e32 v1, v0
	s_or_b32 s6, vcc_lo, s6
	s_andn2_b32 exec_lo, exec_lo, s6
	s_cbranch_execnz .LBB39_63
.LBB39_64:
	s_endpgm
	.section	.rodata,"a",@progbits
	.p2align	6, 0x0
	.amdhsa_kernel _ZN9rocsparseL19kernel_nrm_residualILi1024ELi16E21rocsparse_complex_numIfEiiEEvT3_T2_PKS4_S6_PKS3_PKT1_21rocsparse_index_base_S6_S6_S8_SB_SC_S6_S6_S8_SB_SC_SB_PNS_15floating_traitsIS9_E6data_tEPKSF_
		.amdhsa_group_segment_fixed_size 256
		.amdhsa_private_segment_fixed_size 0
		.amdhsa_kernarg_size 152
		.amdhsa_user_sgpr_count 6
		.amdhsa_user_sgpr_private_segment_buffer 1
		.amdhsa_user_sgpr_dispatch_ptr 0
		.amdhsa_user_sgpr_queue_ptr 0
		.amdhsa_user_sgpr_kernarg_segment_ptr 1
		.amdhsa_user_sgpr_dispatch_id 0
		.amdhsa_user_sgpr_flat_scratch_init 0
		.amdhsa_user_sgpr_private_segment_size 0
		.amdhsa_wavefront_size32 1
		.amdhsa_uses_dynamic_stack 0
		.amdhsa_system_sgpr_private_segment_wavefront_offset 0
		.amdhsa_system_sgpr_workgroup_id_x 1
		.amdhsa_system_sgpr_workgroup_id_y 0
		.amdhsa_system_sgpr_workgroup_id_z 0
		.amdhsa_system_sgpr_workgroup_info 0
		.amdhsa_system_vgpr_workitem_id 0
		.amdhsa_next_free_vgpr 35
		.amdhsa_next_free_sgpr 49
		.amdhsa_reserve_vcc 1
		.amdhsa_reserve_flat_scratch 0
		.amdhsa_float_round_mode_32 0
		.amdhsa_float_round_mode_16_64 0
		.amdhsa_float_denorm_mode_32 3
		.amdhsa_float_denorm_mode_16_64 3
		.amdhsa_dx10_clamp 1
		.amdhsa_ieee_mode 1
		.amdhsa_fp16_overflow 0
		.amdhsa_workgroup_processor_mode 1
		.amdhsa_memory_ordered 1
		.amdhsa_forward_progress 1
		.amdhsa_shared_vgpr_count 0
		.amdhsa_exception_fp_ieee_invalid_op 0
		.amdhsa_exception_fp_denorm_src 0
		.amdhsa_exception_fp_ieee_div_zero 0
		.amdhsa_exception_fp_ieee_overflow 0
		.amdhsa_exception_fp_ieee_underflow 0
		.amdhsa_exception_fp_ieee_inexact 0
		.amdhsa_exception_int_div_zero 0
	.end_amdhsa_kernel
	.section	.text._ZN9rocsparseL19kernel_nrm_residualILi1024ELi16E21rocsparse_complex_numIfEiiEEvT3_T2_PKS4_S6_PKS3_PKT1_21rocsparse_index_base_S6_S6_S8_SB_SC_S6_S6_S8_SB_SC_SB_PNS_15floating_traitsIS9_E6data_tEPKSF_,"axG",@progbits,_ZN9rocsparseL19kernel_nrm_residualILi1024ELi16E21rocsparse_complex_numIfEiiEEvT3_T2_PKS4_S6_PKS3_PKT1_21rocsparse_index_base_S6_S6_S8_SB_SC_S6_S6_S8_SB_SC_SB_PNS_15floating_traitsIS9_E6data_tEPKSF_,comdat
.Lfunc_end39:
	.size	_ZN9rocsparseL19kernel_nrm_residualILi1024ELi16E21rocsparse_complex_numIfEiiEEvT3_T2_PKS4_S6_PKS3_PKT1_21rocsparse_index_base_S6_S6_S8_SB_SC_S6_S6_S8_SB_SC_SB_PNS_15floating_traitsIS9_E6data_tEPKSF_, .Lfunc_end39-_ZN9rocsparseL19kernel_nrm_residualILi1024ELi16E21rocsparse_complex_numIfEiiEEvT3_T2_PKS4_S6_PKS3_PKT1_21rocsparse_index_base_S6_S6_S8_SB_SC_S6_S6_S8_SB_SC_SB_PNS_15floating_traitsIS9_E6data_tEPKSF_
                                        ; -- End function
	.set _ZN9rocsparseL19kernel_nrm_residualILi1024ELi16E21rocsparse_complex_numIfEiiEEvT3_T2_PKS4_S6_PKS3_PKT1_21rocsparse_index_base_S6_S6_S8_SB_SC_S6_S6_S8_SB_SC_SB_PNS_15floating_traitsIS9_E6data_tEPKSF_.num_vgpr, 35
	.set _ZN9rocsparseL19kernel_nrm_residualILi1024ELi16E21rocsparse_complex_numIfEiiEEvT3_T2_PKS4_S6_PKS3_PKT1_21rocsparse_index_base_S6_S6_S8_SB_SC_S6_S6_S8_SB_SC_SB_PNS_15floating_traitsIS9_E6data_tEPKSF_.num_agpr, 0
	.set _ZN9rocsparseL19kernel_nrm_residualILi1024ELi16E21rocsparse_complex_numIfEiiEEvT3_T2_PKS4_S6_PKS3_PKT1_21rocsparse_index_base_S6_S6_S8_SB_SC_S6_S6_S8_SB_SC_SB_PNS_15floating_traitsIS9_E6data_tEPKSF_.numbered_sgpr, 49
	.set _ZN9rocsparseL19kernel_nrm_residualILi1024ELi16E21rocsparse_complex_numIfEiiEEvT3_T2_PKS4_S6_PKS3_PKT1_21rocsparse_index_base_S6_S6_S8_SB_SC_S6_S6_S8_SB_SC_SB_PNS_15floating_traitsIS9_E6data_tEPKSF_.num_named_barrier, 0
	.set _ZN9rocsparseL19kernel_nrm_residualILi1024ELi16E21rocsparse_complex_numIfEiiEEvT3_T2_PKS4_S6_PKS3_PKT1_21rocsparse_index_base_S6_S6_S8_SB_SC_S6_S6_S8_SB_SC_SB_PNS_15floating_traitsIS9_E6data_tEPKSF_.private_seg_size, 0
	.set _ZN9rocsparseL19kernel_nrm_residualILi1024ELi16E21rocsparse_complex_numIfEiiEEvT3_T2_PKS4_S6_PKS3_PKT1_21rocsparse_index_base_S6_S6_S8_SB_SC_S6_S6_S8_SB_SC_SB_PNS_15floating_traitsIS9_E6data_tEPKSF_.uses_vcc, 1
	.set _ZN9rocsparseL19kernel_nrm_residualILi1024ELi16E21rocsparse_complex_numIfEiiEEvT3_T2_PKS4_S6_PKS3_PKT1_21rocsparse_index_base_S6_S6_S8_SB_SC_S6_S6_S8_SB_SC_SB_PNS_15floating_traitsIS9_E6data_tEPKSF_.uses_flat_scratch, 0
	.set _ZN9rocsparseL19kernel_nrm_residualILi1024ELi16E21rocsparse_complex_numIfEiiEEvT3_T2_PKS4_S6_PKS3_PKT1_21rocsparse_index_base_S6_S6_S8_SB_SC_S6_S6_S8_SB_SC_SB_PNS_15floating_traitsIS9_E6data_tEPKSF_.has_dyn_sized_stack, 0
	.set _ZN9rocsparseL19kernel_nrm_residualILi1024ELi16E21rocsparse_complex_numIfEiiEEvT3_T2_PKS4_S6_PKS3_PKT1_21rocsparse_index_base_S6_S6_S8_SB_SC_S6_S6_S8_SB_SC_SB_PNS_15floating_traitsIS9_E6data_tEPKSF_.has_recursion, 0
	.set _ZN9rocsparseL19kernel_nrm_residualILi1024ELi16E21rocsparse_complex_numIfEiiEEvT3_T2_PKS4_S6_PKS3_PKT1_21rocsparse_index_base_S6_S6_S8_SB_SC_S6_S6_S8_SB_SC_SB_PNS_15floating_traitsIS9_E6data_tEPKSF_.has_indirect_call, 0
	.section	.AMDGPU.csdata,"",@progbits
; Kernel info:
; codeLenInByte = 2992
; TotalNumSgprs: 51
; NumVgprs: 35
; ScratchSize: 0
; MemoryBound: 0
; FloatMode: 240
; IeeeMode: 1
; LDSByteSize: 256 bytes/workgroup (compile time only)
; SGPRBlocks: 0
; VGPRBlocks: 4
; NumSGPRsForWavesPerEU: 51
; NumVGPRsForWavesPerEU: 35
; Occupancy: 16
; WaveLimiterHint : 1
; COMPUTE_PGM_RSRC2:SCRATCH_EN: 0
; COMPUTE_PGM_RSRC2:USER_SGPR: 6
; COMPUTE_PGM_RSRC2:TRAP_HANDLER: 0
; COMPUTE_PGM_RSRC2:TGID_X_EN: 1
; COMPUTE_PGM_RSRC2:TGID_Y_EN: 0
; COMPUTE_PGM_RSRC2:TGID_Z_EN: 0
; COMPUTE_PGM_RSRC2:TIDIG_COMP_CNT: 0
	.section	.text._ZN9rocsparseL19kernel_nrm_residualILi1024ELi32E21rocsparse_complex_numIfEiiEEvT3_T2_PKS4_S6_PKS3_PKT1_21rocsparse_index_base_S6_S6_S8_SB_SC_S6_S6_S8_SB_SC_SB_PNS_15floating_traitsIS9_E6data_tEPKSF_,"axG",@progbits,_ZN9rocsparseL19kernel_nrm_residualILi1024ELi32E21rocsparse_complex_numIfEiiEEvT3_T2_PKS4_S6_PKS3_PKT1_21rocsparse_index_base_S6_S6_S8_SB_SC_S6_S6_S8_SB_SC_SB_PNS_15floating_traitsIS9_E6data_tEPKSF_,comdat
	.globl	_ZN9rocsparseL19kernel_nrm_residualILi1024ELi32E21rocsparse_complex_numIfEiiEEvT3_T2_PKS4_S6_PKS3_PKT1_21rocsparse_index_base_S6_S6_S8_SB_SC_S6_S6_S8_SB_SC_SB_PNS_15floating_traitsIS9_E6data_tEPKSF_ ; -- Begin function _ZN9rocsparseL19kernel_nrm_residualILi1024ELi32E21rocsparse_complex_numIfEiiEEvT3_T2_PKS4_S6_PKS3_PKT1_21rocsparse_index_base_S6_S6_S8_SB_SC_S6_S6_S8_SB_SC_SB_PNS_15floating_traitsIS9_E6data_tEPKSF_
	.p2align	8
	.type	_ZN9rocsparseL19kernel_nrm_residualILi1024ELi32E21rocsparse_complex_numIfEiiEEvT3_T2_PKS4_S6_PKS3_PKT1_21rocsparse_index_base_S6_S6_S8_SB_SC_S6_S6_S8_SB_SC_SB_PNS_15floating_traitsIS9_E6data_tEPKSF_,@function
_ZN9rocsparseL19kernel_nrm_residualILi1024ELi32E21rocsparse_complex_numIfEiiEEvT3_T2_PKS4_S6_PKS3_PKT1_21rocsparse_index_base_S6_S6_S8_SB_SC_S6_S6_S8_SB_SC_SB_PNS_15floating_traitsIS9_E6data_tEPKSF_: ; @_ZN9rocsparseL19kernel_nrm_residualILi1024ELi32E21rocsparse_complex_numIfEiiEEvT3_T2_PKS4_S6_PKS3_PKT1_21rocsparse_index_base_S6_S6_S8_SB_SC_S6_S6_S8_SB_SC_SB_PNS_15floating_traitsIS9_E6data_tEPKSF_
; %bb.0:
	s_load_dword s7, s[4:5], 0x0
	v_lshrrev_b32_e32 v13, 5, v0
	s_lshl_b32 s34, s6, 10
	v_and_b32_e32 v14, 31, v0
	v_mov_b32_e32 v15, 0
	s_mov_b32 s6, exec_lo
	v_or_b32_e32 v1, s34, v13
	s_waitcnt lgkmcnt(0)
	v_cmpx_gt_i32_e64 s7, v1
	s_cbranch_execz .LBB40_46
; %bb.1:
	v_mov_b32_e32 v15, 0
	s_addk_i32 s34, 0x400
	s_mov_b32 s33, exec_lo
	v_cmpx_gt_u32_e64 s34, v1
	s_cbranch_execz .LBB40_45
; %bb.2:
	s_clause 0x6
	s_load_dword s35, s[4:5], 0x28
	s_load_dwordx8 s[8:15], s[4:5], 0x58
	s_load_dwordx8 s[16:23], s[4:5], 0x30
	;; [unrolled: 1-line block ×3, first 2 shown]
	s_load_dword s36, s[4:5], 0x50
	s_load_dwordx2 s[2:3], s[4:5], 0x80
	s_load_dword s37, s[4:5], 0x78
	v_mov_b32_e32 v3, 0
	v_mov_b32_e32 v15, 0
	s_mov_b32 s38, 0
	s_waitcnt lgkmcnt(0)
	v_subrev_nc_u32_e32 v16, s35, v14
	s_branch .LBB40_6
.LBB40_3:                               ;   in Loop: Header=BB40_6 Depth=1
	s_or_b32 exec_lo, exec_lo, s41
.LBB40_4:                               ;   in Loop: Header=BB40_6 Depth=1
	s_or_b32 exec_lo, exec_lo, s40
.LBB40_5:                               ;   in Loop: Header=BB40_6 Depth=1
	s_or_b32 exec_lo, exec_lo, s39
	v_add_nc_u32_e32 v1, 32, v1
	v_cmp_le_u32_e32 vcc_lo, s34, v1
	s_or_b32 s38, vcc_lo, s38
	s_andn2_b32 exec_lo, exec_lo, s38
	s_cbranch_execz .LBB40_44
.LBB40_6:                               ; =>This Loop Header: Depth=1
                                        ;     Child Loop BB40_10 Depth 2
                                        ;       Child Loop BB40_14 Depth 3
                                        ;       Child Loop BB40_31 Depth 3
	;; [unrolled: 1-line block ×3, first 2 shown]
	s_mov_b32 s39, exec_lo
	v_cmpx_gt_i32_e64 s7, v1
	s_cbranch_execz .LBB40_5
; %bb.7:                                ;   in Loop: Header=BB40_6 Depth=1
	v_ashrrev_i32_e32 v2, 31, v1
	s_mov_b32 s40, exec_lo
	v_lshlrev_b64 v[5:6], 2, v[1:2]
	v_add_co_u32 v7, vcc_lo, s24, v5
	v_add_co_ci_u32_e64 v8, null, s25, v6, vcc_lo
	v_add_co_u32 v9, vcc_lo, s26, v5
	v_add_co_ci_u32_e64 v10, null, s27, v6, vcc_lo
	global_load_dword v2, v[7:8], off
	global_load_dword v7, v[9:10], off
	s_waitcnt vmcnt(1)
	v_add_nc_u32_e32 v4, v16, v2
	s_waitcnt vmcnt(0)
	v_subrev_nc_u32_e32 v17, s35, v7
	v_cmpx_lt_i32_e64 v4, v17
	s_cbranch_execz .LBB40_4
; %bb.8:                                ;   in Loop: Header=BB40_6 Depth=1
	v_add_co_u32 v7, vcc_lo, s16, v5
	v_add_co_ci_u32_e64 v8, null, s17, v6, vcc_lo
	v_add_co_u32 v5, vcc_lo, s18, v5
	v_add_co_ci_u32_e64 v6, null, s19, v6, vcc_lo
	global_load_dword v2, v[7:8], off
	s_mov_b32 s41, 0
	global_load_dword v5, v[5:6], off
	s_waitcnt vmcnt(1)
	v_subrev_nc_u32_e32 v6, s36, v2
	s_waitcnt vmcnt(0)
	v_sub_nc_u32_e32 v18, v5, v2
	v_ashrrev_i32_e32 v7, 31, v6
	v_cmp_lt_i32_e64 s0, 0, v18
	v_lshlrev_b64 v[8:9], 2, v[6:7]
	v_lshlrev_b64 v[10:11], 3, v[6:7]
	v_add_co_u32 v19, vcc_lo, s20, v8
	v_add_co_ci_u32_e64 v20, null, s21, v9, vcc_lo
	v_add_co_u32 v21, vcc_lo, s22, v10
	v_add_co_ci_u32_e64 v22, null, s23, v11, vcc_lo
	s_branch .LBB40_10
.LBB40_9:                               ;   in Loop: Header=BB40_10 Depth=2
	s_or_b32 exec_lo, exec_lo, s42
	v_add_nc_u32_e32 v4, 32, v4
	v_cmp_nlg_f32_e64 s42, 0x7f800000, |v7|
	v_cmp_gt_f32_e32 vcc_lo, v15, v7
	v_cmp_ge_i32_e64 s1, v4, v17
	s_or_b32 vcc_lo, s42, vcc_lo
	v_cndmask_b32_e32 v15, v7, v15, vcc_lo
	s_or_b32 s41, s1, s41
	s_andn2_b32 exec_lo, exec_lo, s41
	s_cbranch_execz .LBB40_3
.LBB40_10:                              ;   Parent Loop BB40_6 Depth=1
                                        ; =>  This Loop Header: Depth=2
                                        ;       Child Loop BB40_14 Depth 3
                                        ;       Child Loop BB40_31 Depth 3
	;; [unrolled: 1-line block ×3, first 2 shown]
	v_ashrrev_i32_e32 v5, 31, v4
	v_mov_b32_e32 v23, 0
	v_mov_b32_e32 v24, 0
	v_lshlrev_b64 v[7:8], 2, v[4:5]
	v_add_co_u32 v7, vcc_lo, s28, v7
	v_add_co_ci_u32_e64 v8, null, s29, v8, vcc_lo
	global_load_dword v2, v[7:8], off
	s_waitcnt vmcnt(0)
	v_subrev_nc_u32_e32 v7, s35, v2
	v_mov_b32_e32 v2, 0
	v_ashrrev_i32_e32 v8, 31, v7
	v_lshlrev_b64 v[9:10], 2, v[7:8]
	v_add_co_u32 v11, vcc_lo, s8, v9
	v_add_co_ci_u32_e64 v12, null, s9, v10, vcc_lo
	v_add_co_u32 v9, vcc_lo, s10, v9
	v_add_co_ci_u32_e64 v10, null, s11, v10, vcc_lo
	global_load_dword v11, v[11:12], off
	global_load_dword v10, v[9:10], off
	s_waitcnt vmcnt(1)
	v_subrev_nc_u32_e32 v9, s37, v11
	s_waitcnt vmcnt(0)
	v_sub_nc_u32_e32 v25, v10, v11
	v_mov_b32_e32 v10, v2
	s_and_saveexec_b32 s42, s0
	s_cbranch_execz .LBB40_18
; %bb.11:                               ;   in Loop: Header=BB40_10 Depth=2
	v_ashrrev_i32_e32 v10, 31, v9
	v_mov_b32_e32 v23, 0
	v_mov_b32_e32 v2, 0
	;; [unrolled: 1-line block ×3, first 2 shown]
	s_mov_b32 s43, 0
	v_lshlrev_b64 v[26:27], 2, v[9:10]
	v_lshlrev_b64 v[10:11], 3, v[9:10]
                                        ; implicit-def: $sgpr44
	v_add_co_u32 v12, vcc_lo, s12, v26
	v_add_co_ci_u32_e64 v26, null, s13, v27, vcc_lo
	v_add_co_u32 v27, vcc_lo, s14, v10
	v_add_co_ci_u32_e64 v28, null, s15, v11, vcc_lo
	v_mov_b32_e32 v10, 0
	s_branch .LBB40_14
.LBB40_12:                              ;   in Loop: Header=BB40_14 Depth=3
	s_or_b32 exec_lo, exec_lo, s1
	v_cmp_le_i32_e32 vcc_lo, v29, v30
	v_cmp_ge_i32_e64 s1, v29, v30
	v_add_co_ci_u32_e64 v2, null, 0, v2, vcc_lo
	v_add_co_ci_u32_e64 v10, null, 0, v10, s1
	s_andn2_b32 s1, s44, exec_lo
	v_cmp_ge_i32_e32 vcc_lo, v2, v18
	s_and_b32 s44, vcc_lo, exec_lo
	s_or_b32 s44, s1, s44
.LBB40_13:                              ;   in Loop: Header=BB40_14 Depth=3
	s_or_b32 exec_lo, exec_lo, s45
	s_and_b32 s1, exec_lo, s44
	s_or_b32 s43, s1, s43
	s_andn2_b32 exec_lo, exec_lo, s43
	s_cbranch_execz .LBB40_17
.LBB40_14:                              ;   Parent Loop BB40_6 Depth=1
                                        ;     Parent Loop BB40_10 Depth=2
                                        ; =>    This Inner Loop Header: Depth=3
	s_or_b32 s44, s44, exec_lo
	s_mov_b32 s45, exec_lo
	v_cmpx_lt_i32_e64 v10, v25
	s_cbranch_execz .LBB40_13
; %bb.15:                               ;   in Loop: Header=BB40_14 Depth=3
	v_mov_b32_e32 v11, v3
	v_lshlrev_b64 v[29:30], 2, v[2:3]
	s_mov_b32 s1, exec_lo
	v_lshlrev_b64 v[31:32], 2, v[10:11]
	v_add_co_u32 v29, vcc_lo, v19, v29
	v_add_co_ci_u32_e64 v30, null, v20, v30, vcc_lo
	v_add_co_u32 v31, vcc_lo, v12, v31
	v_add_co_ci_u32_e64 v32, null, v26, v32, vcc_lo
	global_load_dword v29, v[29:30], off
	global_load_dword v30, v[31:32], off
	s_waitcnt vmcnt(1)
	v_subrev_nc_u32_e32 v29, s36, v29
	s_waitcnt vmcnt(0)
	v_subrev_nc_u32_e32 v30, s37, v30
	v_cmpx_eq_u32_e64 v29, v30
	s_cbranch_execz .LBB40_12
; %bb.16:                               ;   in Loop: Header=BB40_14 Depth=3
	v_lshlrev_b64 v[31:32], 3, v[2:3]
	v_lshlrev_b64 v[33:34], 3, v[10:11]
	v_add_co_u32 v31, vcc_lo, v21, v31
	v_add_co_ci_u32_e64 v32, null, v22, v32, vcc_lo
	v_add_co_u32 v33, vcc_lo, v27, v33
	v_add_co_ci_u32_e64 v34, null, v28, v34, vcc_lo
	global_load_dwordx2 v[31:32], v[31:32], off
	global_load_dwordx2 v[33:34], v[33:34], off
	s_waitcnt vmcnt(0)
	v_fmac_f32_e32 v23, v31, v33
	v_fmac_f32_e32 v24, v32, v33
	v_fma_f32 v23, -v32, v34, v23
	v_fmac_f32_e32 v24, v31, v34
	s_branch .LBB40_12
.LBB40_17:                              ;   in Loop: Header=BB40_10 Depth=2
	s_or_b32 exec_lo, exec_lo, s43
.LBB40_18:                              ;   in Loop: Header=BB40_10 Depth=2
	s_or_b32 exec_lo, exec_lo, s42
	s_mov_b32 s1, exec_lo
	v_cmpx_ge_i32_e64 v10, v25
	s_xor_b32 s1, exec_lo, s1
	s_cbranch_execnz .LBB40_28
; %bb.19:                               ;   in Loop: Header=BB40_10 Depth=2
	s_andn2_saveexec_b32 s1, s1
	s_cbranch_execnz .LBB40_37
.LBB40_20:                              ;   in Loop: Header=BB40_10 Depth=2
	s_or_b32 exec_lo, exec_lo, s1
	s_mov_b32 s1, exec_lo
	v_cmpx_eq_u32_e64 v1, v7
	s_cbranch_execz .LBB40_22
.LBB40_21:                              ;   in Loop: Header=BB40_10 Depth=2
	v_lshlrev_b64 v[7:8], 3, v[7:8]
	v_add_co_u32 v7, vcc_lo, s2, v7
	v_add_co_ci_u32_e64 v8, null, s3, v8, vcc_lo
	global_load_dwordx2 v[7:8], v[7:8], off
	s_waitcnt vmcnt(0)
	v_add_f32_e32 v23, v23, v7
	v_add_f32_e32 v24, v24, v8
.LBB40_22:                              ;   in Loop: Header=BB40_10 Depth=2
	s_or_b32 exec_lo, exec_lo, s1
	v_lshlrev_b64 v[7:8], 3, v[4:5]
	s_mov_b32 s1, exec_lo
	v_add_co_u32 v7, vcc_lo, s30, v7
	v_add_co_ci_u32_e64 v8, null, s31, v8, vcc_lo
	global_load_dwordx2 v[7:8], v[7:8], off
	s_waitcnt vmcnt(0)
	v_sub_f32_e32 v2, v7, v23
	v_sub_f32_e32 v8, v8, v24
                                        ; implicit-def: $vgpr7
	v_cmp_gt_f32_e32 vcc_lo, 0, v2
	v_cndmask_b32_e64 v2, v2, -v2, vcc_lo
	v_cmp_gt_f32_e32 vcc_lo, 0, v8
	v_cndmask_b32_e64 v5, v8, -v8, vcc_lo
	v_cmpx_ngt_f32_e32 v2, v5
	s_xor_b32 s42, exec_lo, s1
	s_cbranch_execz .LBB40_26
; %bb.23:                               ;   in Loop: Header=BB40_10 Depth=2
	v_mov_b32_e32 v7, 0
	s_mov_b32 s43, exec_lo
	v_cmpx_neq_f32_e32 0, v8
	s_cbranch_execz .LBB40_25
; %bb.24:                               ;   in Loop: Header=BB40_10 Depth=2
	v_div_scale_f32 v7, null, v5, v5, v2
	v_div_scale_f32 v10, vcc_lo, v2, v5, v2
	v_rcp_f32_e32 v8, v7
	v_fma_f32 v9, -v7, v8, 1.0
	v_fmac_f32_e32 v8, v9, v8
	v_mul_f32_e32 v9, v10, v8
	v_fma_f32 v11, -v7, v9, v10
	v_fmac_f32_e32 v9, v11, v8
	v_fma_f32 v7, -v7, v9, v10
	v_div_fmas_f32 v7, v7, v8, v9
	v_div_fixup_f32 v2, v7, v5, v2
	v_fma_f32 v2, v2, v2, 1.0
	v_mul_f32_e32 v7, 0x4f800000, v2
	v_cmp_gt_f32_e32 vcc_lo, 0xf800000, v2
	v_cndmask_b32_e32 v2, v2, v7, vcc_lo
	v_sqrt_f32_e32 v7, v2
	v_add_nc_u32_e32 v8, -1, v7
	v_add_nc_u32_e32 v9, 1, v7
	v_fma_f32 v10, -v8, v7, v2
	v_fma_f32 v11, -v9, v7, v2
	v_cmp_ge_f32_e64 s1, 0, v10
	v_cndmask_b32_e64 v7, v7, v8, s1
	v_cmp_lt_f32_e64 s1, 0, v11
	v_cndmask_b32_e64 v7, v7, v9, s1
	v_mul_f32_e32 v8, 0x37800000, v7
	v_cndmask_b32_e32 v7, v7, v8, vcc_lo
	v_cmp_class_f32_e64 vcc_lo, v2, 0x260
	v_cndmask_b32_e32 v2, v7, v2, vcc_lo
	v_mul_f32_e32 v7, v5, v2
.LBB40_25:                              ;   in Loop: Header=BB40_10 Depth=2
	s_or_b32 exec_lo, exec_lo, s43
                                        ; implicit-def: $vgpr2
                                        ; implicit-def: $vgpr5
.LBB40_26:                              ;   in Loop: Header=BB40_10 Depth=2
	s_andn2_saveexec_b32 s42, s42
	s_cbranch_execz .LBB40_9
; %bb.27:                               ;   in Loop: Header=BB40_10 Depth=2
	v_div_scale_f32 v7, null, v2, v2, v5
	v_div_scale_f32 v10, vcc_lo, v5, v2, v5
	v_rcp_f32_e32 v8, v7
	v_fma_f32 v9, -v7, v8, 1.0
	v_fmac_f32_e32 v8, v9, v8
	v_mul_f32_e32 v9, v10, v8
	v_fma_f32 v11, -v7, v9, v10
	v_fmac_f32_e32 v9, v11, v8
	v_fma_f32 v7, -v7, v9, v10
	v_div_fmas_f32 v7, v7, v8, v9
	v_div_fixup_f32 v5, v7, v2, v5
	v_fma_f32 v5, v5, v5, 1.0
	v_mul_f32_e32 v7, 0x4f800000, v5
	v_cmp_gt_f32_e32 vcc_lo, 0xf800000, v5
	v_cndmask_b32_e32 v5, v5, v7, vcc_lo
	v_sqrt_f32_e32 v7, v5
	v_add_nc_u32_e32 v8, -1, v7
	v_add_nc_u32_e32 v9, 1, v7
	v_fma_f32 v10, -v8, v7, v5
	v_fma_f32 v11, -v9, v7, v5
	v_cmp_ge_f32_e64 s1, 0, v10
	v_cndmask_b32_e64 v7, v7, v8, s1
	v_cmp_lt_f32_e64 s1, 0, v11
	v_cndmask_b32_e64 v7, v7, v9, s1
	v_mul_f32_e32 v8, 0x37800000, v7
	v_cndmask_b32_e32 v7, v7, v8, vcc_lo
	v_cmp_class_f32_e64 vcc_lo, v5, 0x260
	v_cndmask_b32_e32 v5, v7, v5, vcc_lo
	v_mul_f32_e32 v7, v2, v5
	s_branch .LBB40_9
.LBB40_28:                              ;   in Loop: Header=BB40_10 Depth=2
	s_mov_b32 s42, exec_lo
	v_cmpx_lt_i32_e64 v2, v18
	s_cbranch_execz .LBB40_36
; %bb.29:                               ;   in Loop: Header=BB40_10 Depth=2
	s_mov_b32 s44, 0
                                        ; implicit-def: $sgpr43
                                        ; implicit-def: $sgpr46
                                        ; implicit-def: $sgpr45
	s_inst_prefetch 0x1
	s_branch .LBB40_31
	.p2align	6
.LBB40_30:                              ;   in Loop: Header=BB40_31 Depth=3
	s_or_b32 exec_lo, exec_lo, s47
	s_and_b32 s47, exec_lo, s46
	s_or_b32 s44, s47, s44
	s_andn2_b32 s43, s43, exec_lo
	s_and_b32 s47, s45, exec_lo
	s_or_b32 s43, s43, s47
	s_andn2_b32 exec_lo, exec_lo, s44
	s_cbranch_execz .LBB40_33
.LBB40_31:                              ;   Parent Loop BB40_6 Depth=1
                                        ;     Parent Loop BB40_10 Depth=2
                                        ; =>    This Inner Loop Header: Depth=3
	v_add_nc_u32_e32 v9, v6, v2
	s_or_b32 s45, s45, exec_lo
	s_or_b32 s46, s46, exec_lo
	s_mov_b32 s47, exec_lo
	v_ashrrev_i32_e32 v10, 31, v9
	v_lshlrev_b64 v[11:12], 2, v[9:10]
	v_add_co_u32 v11, vcc_lo, s20, v11
	v_add_co_ci_u32_e64 v12, null, s21, v12, vcc_lo
	global_load_dword v11, v[11:12], off
	s_waitcnt vmcnt(0)
	v_subrev_nc_u32_e32 v11, s36, v11
	v_cmpx_ne_u32_e64 v11, v7
	s_cbranch_execz .LBB40_30
; %bb.32:                               ;   in Loop: Header=BB40_31 Depth=3
	v_add_nc_u32_e32 v2, 1, v2
	s_andn2_b32 s46, s46, exec_lo
	s_andn2_b32 s45, s45, exec_lo
	v_cmp_ge_i32_e32 vcc_lo, v2, v18
	s_and_b32 s48, vcc_lo, exec_lo
	s_or_b32 s46, s46, s48
	s_branch .LBB40_30
.LBB40_33:                              ;   in Loop: Header=BB40_10 Depth=2
	s_inst_prefetch 0x2
	s_or_b32 exec_lo, exec_lo, s44
	s_and_saveexec_b32 s44, s43
	s_xor_b32 s43, exec_lo, s44
	s_cbranch_execz .LBB40_35
; %bb.34:                               ;   in Loop: Header=BB40_10 Depth=2
	v_lshlrev_b64 v[9:10], 3, v[9:10]
	v_lshlrev_b64 v[11:12], 3, v[7:8]
	v_add_co_u32 v9, vcc_lo, s22, v9
	v_add_co_ci_u32_e64 v10, null, s23, v10, vcc_lo
	v_add_co_u32 v11, vcc_lo, s2, v11
	v_add_co_ci_u32_e64 v12, null, s3, v12, vcc_lo
	global_load_dwordx2 v[9:10], v[9:10], off
	global_load_dwordx2 v[11:12], v[11:12], off
	s_waitcnt vmcnt(0)
	v_mul_f32_e64 v2, v12, -v10
	v_mul_f32_e32 v12, v12, v9
	v_fmac_f32_e32 v2, v9, v11
	v_fmac_f32_e32 v12, v10, v11
	v_add_f32_e32 v23, v23, v2
	v_add_f32_e32 v24, v24, v12
.LBB40_35:                              ;   in Loop: Header=BB40_10 Depth=2
	s_or_b32 exec_lo, exec_lo, s43
.LBB40_36:                              ;   in Loop: Header=BB40_10 Depth=2
	s_or_b32 exec_lo, exec_lo, s42
                                        ; implicit-def: $vgpr10
                                        ; implicit-def: $vgpr9
                                        ; implicit-def: $vgpr25
	s_andn2_saveexec_b32 s1, s1
	s_cbranch_execz .LBB40_20
.LBB40_37:                              ;   in Loop: Header=BB40_10 Depth=2
	s_mov_b32 s43, 0
                                        ; implicit-def: $sgpr42
                                        ; implicit-def: $sgpr45
                                        ; implicit-def: $sgpr44
	s_inst_prefetch 0x1
	s_branch .LBB40_39
	.p2align	6
.LBB40_38:                              ;   in Loop: Header=BB40_39 Depth=3
	s_or_b32 exec_lo, exec_lo, s46
	s_and_b32 s46, exec_lo, s45
	s_or_b32 s43, s46, s43
	s_andn2_b32 s42, s42, exec_lo
	s_and_b32 s46, s44, exec_lo
	s_or_b32 s42, s42, s46
	s_andn2_b32 exec_lo, exec_lo, s43
	s_cbranch_execz .LBB40_41
.LBB40_39:                              ;   Parent Loop BB40_6 Depth=1
                                        ;     Parent Loop BB40_10 Depth=2
                                        ; =>    This Inner Loop Header: Depth=3
	v_add_nc_u32_e32 v11, v9, v10
	s_or_b32 s44, s44, exec_lo
	s_or_b32 s45, s45, exec_lo
	s_mov_b32 s46, exec_lo
	v_ashrrev_i32_e32 v12, 31, v11
	v_lshlrev_b64 v[26:27], 2, v[11:12]
	v_add_co_u32 v26, vcc_lo, s12, v26
	v_add_co_ci_u32_e64 v27, null, s13, v27, vcc_lo
	global_load_dword v2, v[26:27], off
	s_waitcnt vmcnt(0)
	v_subrev_nc_u32_e32 v2, s37, v2
	v_cmpx_ne_u32_e64 v2, v1
	s_cbranch_execz .LBB40_38
; %bb.40:                               ;   in Loop: Header=BB40_39 Depth=3
	v_add_nc_u32_e32 v10, 1, v10
	s_andn2_b32 s45, s45, exec_lo
	s_andn2_b32 s44, s44, exec_lo
	v_cmp_ge_i32_e32 vcc_lo, v10, v25
	s_and_b32 s47, vcc_lo, exec_lo
	s_or_b32 s45, s45, s47
	s_branch .LBB40_38
.LBB40_41:                              ;   in Loop: Header=BB40_10 Depth=2
	s_inst_prefetch 0x2
	s_or_b32 exec_lo, exec_lo, s43
	s_and_saveexec_b32 s43, s42
	s_xor_b32 s42, exec_lo, s43
	s_cbranch_execz .LBB40_43
; %bb.42:                               ;   in Loop: Header=BB40_10 Depth=2
	v_lshlrev_b64 v[9:10], 3, v[11:12]
	v_add_co_u32 v9, vcc_lo, s14, v9
	v_add_co_ci_u32_e64 v10, null, s15, v10, vcc_lo
	global_load_dwordx2 v[9:10], v[9:10], off
	s_waitcnt vmcnt(0)
	v_add_f32_e32 v23, v23, v9
	v_add_f32_e32 v24, v24, v10
.LBB40_43:                              ;   in Loop: Header=BB40_10 Depth=2
	s_or_b32 exec_lo, exec_lo, s42
	s_or_b32 exec_lo, exec_lo, s1
	s_mov_b32 s1, exec_lo
	v_cmpx_eq_u32_e64 v1, v7
	s_cbranch_execnz .LBB40_21
	s_branch .LBB40_22
.LBB40_44:
	s_or_b32 exec_lo, exec_lo, s38
.LBB40_45:
	s_or_b32 exec_lo, exec_lo, s33
.LBB40_46:
	s_or_b32 exec_lo, exec_lo, s6
	v_mbcnt_lo_u32_b32 v1, -1, 0
	s_mov_b32 s0, exec_lo
	v_xor_b32_e32 v2, 16, v1
	v_xor_b32_e32 v3, 8, v1
	;; [unrolled: 1-line block ×3, first 2 shown]
	v_cmp_gt_i32_e32 vcc_lo, 32, v2
	v_cndmask_b32_e32 v2, v1, v2, vcc_lo
	v_cmp_gt_i32_e32 vcc_lo, 32, v3
	v_lshlrev_b32_e32 v2, 2, v2
	v_cndmask_b32_e32 v3, v1, v3, vcc_lo
	ds_bpermute_b32 v2, v2, v15
	v_lshlrev_b32_e32 v3, 2, v3
	s_waitcnt lgkmcnt(0)
	v_cmp_lt_f32_e32 vcc_lo, v15, v2
	v_cndmask_b32_e32 v2, v15, v2, vcc_lo
	v_cmp_gt_i32_e32 vcc_lo, 32, v4
	ds_bpermute_b32 v3, v3, v2
	v_cndmask_b32_e32 v4, v1, v4, vcc_lo
	v_lshlrev_b32_e32 v4, 2, v4
	s_waitcnt lgkmcnt(0)
	v_cmp_lt_f32_e32 vcc_lo, v2, v3
	v_cndmask_b32_e32 v2, v2, v3, vcc_lo
	ds_bpermute_b32 v3, v4, v2
	v_xor_b32_e32 v4, 2, v1
	v_cmp_gt_i32_e32 vcc_lo, 32, v4
	v_cndmask_b32_e32 v4, v1, v4, vcc_lo
	v_lshlrev_b32_e32 v4, 2, v4
	s_waitcnt lgkmcnt(0)
	v_cmp_lt_f32_e32 vcc_lo, v2, v3
	v_cndmask_b32_e32 v2, v2, v3, vcc_lo
	ds_bpermute_b32 v3, v4, v2
	v_xor_b32_e32 v4, 1, v1
	v_cmp_gt_i32_e32 vcc_lo, 32, v4
	v_cndmask_b32_e32 v4, v1, v4, vcc_lo
	s_waitcnt lgkmcnt(0)
	v_cmp_lt_f32_e32 vcc_lo, v2, v3
	v_cndmask_b32_e32 v1, v2, v3, vcc_lo
	v_lshlrev_b32_e32 v2, 2, v4
	ds_bpermute_b32 v2, v2, v1
	v_cmpx_eq_u32_e32 31, v14
	s_cbranch_execz .LBB40_48
; %bb.47:
	s_waitcnt lgkmcnt(0)
	v_cmp_lt_f32_e32 vcc_lo, v1, v2
	v_lshlrev_b32_e32 v3, 2, v13
	v_cndmask_b32_e32 v1, v1, v2, vcc_lo
	ds_write_b32 v3, v1
.LBB40_48:
	s_or_b32 exec_lo, exec_lo, s0
	v_lshlrev_b32_e32 v1, 2, v0
	s_mov_b32 s0, exec_lo
	s_waitcnt lgkmcnt(0)
	s_barrier
	buffer_gl0_inv
	v_cmpx_gt_u32_e32 16, v0
	s_cbranch_execz .LBB40_50
; %bb.49:
	ds_read2_b32 v[2:3], v1 offset1:16
	s_waitcnt lgkmcnt(0)
	v_cmp_lt_f32_e32 vcc_lo, v2, v3
	v_cndmask_b32_e32 v2, v2, v3, vcc_lo
	ds_write_b32 v1, v2
.LBB40_50:
	s_or_b32 exec_lo, exec_lo, s0
	s_mov_b32 s0, exec_lo
	s_waitcnt lgkmcnt(0)
	s_barrier
	buffer_gl0_inv
	v_cmpx_gt_u32_e32 8, v0
	s_cbranch_execz .LBB40_52
; %bb.51:
	ds_read2_b32 v[2:3], v1 offset1:8
	s_waitcnt lgkmcnt(0)
	v_cmp_lt_f32_e32 vcc_lo, v2, v3
	v_cndmask_b32_e32 v2, v2, v3, vcc_lo
	ds_write_b32 v1, v2
.LBB40_52:
	s_or_b32 exec_lo, exec_lo, s0
	;; [unrolled: 14-line block ×4, first 2 shown]
	v_cmp_eq_u32_e32 vcc_lo, 0, v0
	s_waitcnt lgkmcnt(0)
	s_barrier
	buffer_gl0_inv
	s_and_saveexec_b32 s1, vcc_lo
	s_cbranch_execz .LBB40_58
; %bb.57:
	v_mov_b32_e32 v2, 0
	ds_read_b64 v[0:1], v2
	s_waitcnt lgkmcnt(0)
	v_cmp_lt_f32_e64 s0, v0, v1
	v_cndmask_b32_e64 v0, v0, v1, s0
	ds_write_b32 v2, v0
.LBB40_58:
	s_or_b32 exec_lo, exec_lo, s1
	s_waitcnt lgkmcnt(0)
	s_barrier
	buffer_gl0_inv
	s_and_saveexec_b32 s0, vcc_lo
	s_cbranch_execz .LBB40_62
; %bb.59:
	v_mbcnt_lo_u32_b32 v0, exec_lo, 0
	s_mov_b32 s6, 0
	v_cmp_eq_u32_e32 vcc_lo, 0, v0
	s_and_b32 exec_lo, exec_lo, vcc_lo
	s_cbranch_execz .LBB40_62
; %bb.60:
	s_load_dwordx4 s[0:3], s[4:5], 0x88
	v_mov_b32_e32 v2, 0
	ds_read_b32 v0, v2
	s_waitcnt lgkmcnt(0)
	s_load_dword s2, s[2:3], 0x0
	s_load_dword s3, s[0:1], 0x0
	s_waitcnt lgkmcnt(0)
	v_div_scale_f32 v1, null, s2, s2, v0
	v_rcp_f32_e32 v3, v1
	v_fma_f32 v4, -v1, v3, 1.0
	v_fmac_f32_e32 v3, v4, v3
	v_div_scale_f32 v4, vcc_lo, v0, s2, v0
	v_mul_f32_e32 v5, v4, v3
	v_fma_f32 v6, -v1, v5, v4
	v_fmac_f32_e32 v5, v6, v3
	v_fma_f32 v1, -v1, v5, v4
	v_div_fmas_f32 v1, v1, v3, v5
	v_div_fixup_f32 v0, v1, s2, v0
	v_mov_b32_e32 v1, s3
	v_max_f32_e32 v3, v0, v0
.LBB40_61:                              ; =>This Inner Loop Header: Depth=1
	v_max_f32_e32 v0, v1, v1
	v_max_f32_e32 v0, v0, v3
	global_atomic_cmpswap v0, v2, v[0:1], s[0:1] glc
	s_waitcnt vmcnt(0)
	v_cmp_eq_u32_e32 vcc_lo, v0, v1
	v_mov_b32_e32 v1, v0
	s_or_b32 s6, vcc_lo, s6
	s_andn2_b32 exec_lo, exec_lo, s6
	s_cbranch_execnz .LBB40_61
.LBB40_62:
	s_endpgm
	.section	.rodata,"a",@progbits
	.p2align	6, 0x0
	.amdhsa_kernel _ZN9rocsparseL19kernel_nrm_residualILi1024ELi32E21rocsparse_complex_numIfEiiEEvT3_T2_PKS4_S6_PKS3_PKT1_21rocsparse_index_base_S6_S6_S8_SB_SC_S6_S6_S8_SB_SC_SB_PNS_15floating_traitsIS9_E6data_tEPKSF_
		.amdhsa_group_segment_fixed_size 128
		.amdhsa_private_segment_fixed_size 0
		.amdhsa_kernarg_size 152
		.amdhsa_user_sgpr_count 6
		.amdhsa_user_sgpr_private_segment_buffer 1
		.amdhsa_user_sgpr_dispatch_ptr 0
		.amdhsa_user_sgpr_queue_ptr 0
		.amdhsa_user_sgpr_kernarg_segment_ptr 1
		.amdhsa_user_sgpr_dispatch_id 0
		.amdhsa_user_sgpr_flat_scratch_init 0
		.amdhsa_user_sgpr_private_segment_size 0
		.amdhsa_wavefront_size32 1
		.amdhsa_uses_dynamic_stack 0
		.amdhsa_system_sgpr_private_segment_wavefront_offset 0
		.amdhsa_system_sgpr_workgroup_id_x 1
		.amdhsa_system_sgpr_workgroup_id_y 0
		.amdhsa_system_sgpr_workgroup_id_z 0
		.amdhsa_system_sgpr_workgroup_info 0
		.amdhsa_system_vgpr_workitem_id 0
		.amdhsa_next_free_vgpr 35
		.amdhsa_next_free_sgpr 49
		.amdhsa_reserve_vcc 1
		.amdhsa_reserve_flat_scratch 0
		.amdhsa_float_round_mode_32 0
		.amdhsa_float_round_mode_16_64 0
		.amdhsa_float_denorm_mode_32 3
		.amdhsa_float_denorm_mode_16_64 3
		.amdhsa_dx10_clamp 1
		.amdhsa_ieee_mode 1
		.amdhsa_fp16_overflow 0
		.amdhsa_workgroup_processor_mode 1
		.amdhsa_memory_ordered 1
		.amdhsa_forward_progress 1
		.amdhsa_shared_vgpr_count 0
		.amdhsa_exception_fp_ieee_invalid_op 0
		.amdhsa_exception_fp_denorm_src 0
		.amdhsa_exception_fp_ieee_div_zero 0
		.amdhsa_exception_fp_ieee_overflow 0
		.amdhsa_exception_fp_ieee_underflow 0
		.amdhsa_exception_fp_ieee_inexact 0
		.amdhsa_exception_int_div_zero 0
	.end_amdhsa_kernel
	.section	.text._ZN9rocsparseL19kernel_nrm_residualILi1024ELi32E21rocsparse_complex_numIfEiiEEvT3_T2_PKS4_S6_PKS3_PKT1_21rocsparse_index_base_S6_S6_S8_SB_SC_S6_S6_S8_SB_SC_SB_PNS_15floating_traitsIS9_E6data_tEPKSF_,"axG",@progbits,_ZN9rocsparseL19kernel_nrm_residualILi1024ELi32E21rocsparse_complex_numIfEiiEEvT3_T2_PKS4_S6_PKS3_PKT1_21rocsparse_index_base_S6_S6_S8_SB_SC_S6_S6_S8_SB_SC_SB_PNS_15floating_traitsIS9_E6data_tEPKSF_,comdat
.Lfunc_end40:
	.size	_ZN9rocsparseL19kernel_nrm_residualILi1024ELi32E21rocsparse_complex_numIfEiiEEvT3_T2_PKS4_S6_PKS3_PKT1_21rocsparse_index_base_S6_S6_S8_SB_SC_S6_S6_S8_SB_SC_SB_PNS_15floating_traitsIS9_E6data_tEPKSF_, .Lfunc_end40-_ZN9rocsparseL19kernel_nrm_residualILi1024ELi32E21rocsparse_complex_numIfEiiEEvT3_T2_PKS4_S6_PKS3_PKT1_21rocsparse_index_base_S6_S6_S8_SB_SC_S6_S6_S8_SB_SC_SB_PNS_15floating_traitsIS9_E6data_tEPKSF_
                                        ; -- End function
	.set _ZN9rocsparseL19kernel_nrm_residualILi1024ELi32E21rocsparse_complex_numIfEiiEEvT3_T2_PKS4_S6_PKS3_PKT1_21rocsparse_index_base_S6_S6_S8_SB_SC_S6_S6_S8_SB_SC_SB_PNS_15floating_traitsIS9_E6data_tEPKSF_.num_vgpr, 35
	.set _ZN9rocsparseL19kernel_nrm_residualILi1024ELi32E21rocsparse_complex_numIfEiiEEvT3_T2_PKS4_S6_PKS3_PKT1_21rocsparse_index_base_S6_S6_S8_SB_SC_S6_S6_S8_SB_SC_SB_PNS_15floating_traitsIS9_E6data_tEPKSF_.num_agpr, 0
	.set _ZN9rocsparseL19kernel_nrm_residualILi1024ELi32E21rocsparse_complex_numIfEiiEEvT3_T2_PKS4_S6_PKS3_PKT1_21rocsparse_index_base_S6_S6_S8_SB_SC_S6_S6_S8_SB_SC_SB_PNS_15floating_traitsIS9_E6data_tEPKSF_.numbered_sgpr, 49
	.set _ZN9rocsparseL19kernel_nrm_residualILi1024ELi32E21rocsparse_complex_numIfEiiEEvT3_T2_PKS4_S6_PKS3_PKT1_21rocsparse_index_base_S6_S6_S8_SB_SC_S6_S6_S8_SB_SC_SB_PNS_15floating_traitsIS9_E6data_tEPKSF_.num_named_barrier, 0
	.set _ZN9rocsparseL19kernel_nrm_residualILi1024ELi32E21rocsparse_complex_numIfEiiEEvT3_T2_PKS4_S6_PKS3_PKT1_21rocsparse_index_base_S6_S6_S8_SB_SC_S6_S6_S8_SB_SC_SB_PNS_15floating_traitsIS9_E6data_tEPKSF_.private_seg_size, 0
	.set _ZN9rocsparseL19kernel_nrm_residualILi1024ELi32E21rocsparse_complex_numIfEiiEEvT3_T2_PKS4_S6_PKS3_PKT1_21rocsparse_index_base_S6_S6_S8_SB_SC_S6_S6_S8_SB_SC_SB_PNS_15floating_traitsIS9_E6data_tEPKSF_.uses_vcc, 1
	.set _ZN9rocsparseL19kernel_nrm_residualILi1024ELi32E21rocsparse_complex_numIfEiiEEvT3_T2_PKS4_S6_PKS3_PKT1_21rocsparse_index_base_S6_S6_S8_SB_SC_S6_S6_S8_SB_SC_SB_PNS_15floating_traitsIS9_E6data_tEPKSF_.uses_flat_scratch, 0
	.set _ZN9rocsparseL19kernel_nrm_residualILi1024ELi32E21rocsparse_complex_numIfEiiEEvT3_T2_PKS4_S6_PKS3_PKT1_21rocsparse_index_base_S6_S6_S8_SB_SC_S6_S6_S8_SB_SC_SB_PNS_15floating_traitsIS9_E6data_tEPKSF_.has_dyn_sized_stack, 0
	.set _ZN9rocsparseL19kernel_nrm_residualILi1024ELi32E21rocsparse_complex_numIfEiiEEvT3_T2_PKS4_S6_PKS3_PKT1_21rocsparse_index_base_S6_S6_S8_SB_SC_S6_S6_S8_SB_SC_SB_PNS_15floating_traitsIS9_E6data_tEPKSF_.has_recursion, 0
	.set _ZN9rocsparseL19kernel_nrm_residualILi1024ELi32E21rocsparse_complex_numIfEiiEEvT3_T2_PKS4_S6_PKS3_PKT1_21rocsparse_index_base_S6_S6_S8_SB_SC_S6_S6_S8_SB_SC_SB_PNS_15floating_traitsIS9_E6data_tEPKSF_.has_indirect_call, 0
	.section	.AMDGPU.csdata,"",@progbits
; Kernel info:
; codeLenInByte = 2968
; TotalNumSgprs: 51
; NumVgprs: 35
; ScratchSize: 0
; MemoryBound: 0
; FloatMode: 240
; IeeeMode: 1
; LDSByteSize: 128 bytes/workgroup (compile time only)
; SGPRBlocks: 0
; VGPRBlocks: 4
; NumSGPRsForWavesPerEU: 51
; NumVGPRsForWavesPerEU: 35
; Occupancy: 16
; WaveLimiterHint : 1
; COMPUTE_PGM_RSRC2:SCRATCH_EN: 0
; COMPUTE_PGM_RSRC2:USER_SGPR: 6
; COMPUTE_PGM_RSRC2:TRAP_HANDLER: 0
; COMPUTE_PGM_RSRC2:TGID_X_EN: 1
; COMPUTE_PGM_RSRC2:TGID_Y_EN: 0
; COMPUTE_PGM_RSRC2:TGID_Z_EN: 0
; COMPUTE_PGM_RSRC2:TIDIG_COMP_CNT: 0
	.section	.text._ZN9rocsparseL19kernel_nrm_residualILi1024ELi64E21rocsparse_complex_numIfEiiEEvT3_T2_PKS4_S6_PKS3_PKT1_21rocsparse_index_base_S6_S6_S8_SB_SC_S6_S6_S8_SB_SC_SB_PNS_15floating_traitsIS9_E6data_tEPKSF_,"axG",@progbits,_ZN9rocsparseL19kernel_nrm_residualILi1024ELi64E21rocsparse_complex_numIfEiiEEvT3_T2_PKS4_S6_PKS3_PKT1_21rocsparse_index_base_S6_S6_S8_SB_SC_S6_S6_S8_SB_SC_SB_PNS_15floating_traitsIS9_E6data_tEPKSF_,comdat
	.globl	_ZN9rocsparseL19kernel_nrm_residualILi1024ELi64E21rocsparse_complex_numIfEiiEEvT3_T2_PKS4_S6_PKS3_PKT1_21rocsparse_index_base_S6_S6_S8_SB_SC_S6_S6_S8_SB_SC_SB_PNS_15floating_traitsIS9_E6data_tEPKSF_ ; -- Begin function _ZN9rocsparseL19kernel_nrm_residualILi1024ELi64E21rocsparse_complex_numIfEiiEEvT3_T2_PKS4_S6_PKS3_PKT1_21rocsparse_index_base_S6_S6_S8_SB_SC_S6_S6_S8_SB_SC_SB_PNS_15floating_traitsIS9_E6data_tEPKSF_
	.p2align	8
	.type	_ZN9rocsparseL19kernel_nrm_residualILi1024ELi64E21rocsparse_complex_numIfEiiEEvT3_T2_PKS4_S6_PKS3_PKT1_21rocsparse_index_base_S6_S6_S8_SB_SC_S6_S6_S8_SB_SC_SB_PNS_15floating_traitsIS9_E6data_tEPKSF_,@function
_ZN9rocsparseL19kernel_nrm_residualILi1024ELi64E21rocsparse_complex_numIfEiiEEvT3_T2_PKS4_S6_PKS3_PKT1_21rocsparse_index_base_S6_S6_S8_SB_SC_S6_S6_S8_SB_SC_SB_PNS_15floating_traitsIS9_E6data_tEPKSF_: ; @_ZN9rocsparseL19kernel_nrm_residualILi1024ELi64E21rocsparse_complex_numIfEiiEEvT3_T2_PKS4_S6_PKS3_PKT1_21rocsparse_index_base_S6_S6_S8_SB_SC_S6_S6_S8_SB_SC_SB_PNS_15floating_traitsIS9_E6data_tEPKSF_
; %bb.0:
	s_load_dword s7, s[4:5], 0x0
	v_lshrrev_b32_e32 v13, 6, v0
	s_lshl_b32 s34, s6, 10
	v_and_b32_e32 v14, 63, v0
	v_mov_b32_e32 v15, 0
	s_mov_b32 s6, exec_lo
	v_or_b32_e32 v1, s34, v13
	s_waitcnt lgkmcnt(0)
	v_cmpx_gt_i32_e64 s7, v1
	s_cbranch_execz .LBB41_46
; %bb.1:
	v_mov_b32_e32 v15, 0
	s_addk_i32 s34, 0x400
	s_mov_b32 s33, exec_lo
	v_cmpx_gt_u32_e64 s34, v1
	s_cbranch_execz .LBB41_45
; %bb.2:
	s_clause 0x6
	s_load_dword s35, s[4:5], 0x28
	s_load_dwordx8 s[8:15], s[4:5], 0x58
	s_load_dwordx8 s[16:23], s[4:5], 0x30
	;; [unrolled: 1-line block ×3, first 2 shown]
	s_load_dword s36, s[4:5], 0x50
	s_load_dwordx2 s[2:3], s[4:5], 0x80
	s_load_dword s37, s[4:5], 0x78
	v_mov_b32_e32 v3, 0
	v_mov_b32_e32 v15, 0
	s_mov_b32 s38, 0
	s_waitcnt lgkmcnt(0)
	v_subrev_nc_u32_e32 v16, s35, v14
	s_branch .LBB41_6
.LBB41_3:                               ;   in Loop: Header=BB41_6 Depth=1
	s_or_b32 exec_lo, exec_lo, s41
.LBB41_4:                               ;   in Loop: Header=BB41_6 Depth=1
	s_or_b32 exec_lo, exec_lo, s40
.LBB41_5:                               ;   in Loop: Header=BB41_6 Depth=1
	s_or_b32 exec_lo, exec_lo, s39
	v_add_nc_u32_e32 v1, 16, v1
	v_cmp_le_u32_e32 vcc_lo, s34, v1
	s_or_b32 s38, vcc_lo, s38
	s_andn2_b32 exec_lo, exec_lo, s38
	s_cbranch_execz .LBB41_44
.LBB41_6:                               ; =>This Loop Header: Depth=1
                                        ;     Child Loop BB41_10 Depth 2
                                        ;       Child Loop BB41_14 Depth 3
                                        ;       Child Loop BB41_31 Depth 3
	;; [unrolled: 1-line block ×3, first 2 shown]
	s_mov_b32 s39, exec_lo
	v_cmpx_gt_i32_e64 s7, v1
	s_cbranch_execz .LBB41_5
; %bb.7:                                ;   in Loop: Header=BB41_6 Depth=1
	v_ashrrev_i32_e32 v2, 31, v1
	s_mov_b32 s40, exec_lo
	v_lshlrev_b64 v[5:6], 2, v[1:2]
	v_add_co_u32 v7, vcc_lo, s24, v5
	v_add_co_ci_u32_e64 v8, null, s25, v6, vcc_lo
	v_add_co_u32 v9, vcc_lo, s26, v5
	v_add_co_ci_u32_e64 v10, null, s27, v6, vcc_lo
	global_load_dword v2, v[7:8], off
	global_load_dword v7, v[9:10], off
	s_waitcnt vmcnt(1)
	v_add_nc_u32_e32 v4, v16, v2
	s_waitcnt vmcnt(0)
	v_subrev_nc_u32_e32 v17, s35, v7
	v_cmpx_lt_i32_e64 v4, v17
	s_cbranch_execz .LBB41_4
; %bb.8:                                ;   in Loop: Header=BB41_6 Depth=1
	v_add_co_u32 v7, vcc_lo, s16, v5
	v_add_co_ci_u32_e64 v8, null, s17, v6, vcc_lo
	v_add_co_u32 v5, vcc_lo, s18, v5
	v_add_co_ci_u32_e64 v6, null, s19, v6, vcc_lo
	global_load_dword v2, v[7:8], off
	s_mov_b32 s41, 0
	global_load_dword v5, v[5:6], off
	s_waitcnt vmcnt(1)
	v_subrev_nc_u32_e32 v6, s36, v2
	s_waitcnt vmcnt(0)
	v_sub_nc_u32_e32 v18, v5, v2
	v_ashrrev_i32_e32 v7, 31, v6
	v_cmp_lt_i32_e64 s0, 0, v18
	v_lshlrev_b64 v[8:9], 2, v[6:7]
	v_lshlrev_b64 v[10:11], 3, v[6:7]
	v_add_co_u32 v19, vcc_lo, s20, v8
	v_add_co_ci_u32_e64 v20, null, s21, v9, vcc_lo
	v_add_co_u32 v21, vcc_lo, s22, v10
	v_add_co_ci_u32_e64 v22, null, s23, v11, vcc_lo
	s_branch .LBB41_10
.LBB41_9:                               ;   in Loop: Header=BB41_10 Depth=2
	s_or_b32 exec_lo, exec_lo, s42
	v_add_nc_u32_e32 v4, 64, v4
	v_cmp_nlg_f32_e64 s42, 0x7f800000, |v7|
	v_cmp_gt_f32_e32 vcc_lo, v15, v7
	v_cmp_ge_i32_e64 s1, v4, v17
	s_or_b32 vcc_lo, s42, vcc_lo
	v_cndmask_b32_e32 v15, v7, v15, vcc_lo
	s_or_b32 s41, s1, s41
	s_andn2_b32 exec_lo, exec_lo, s41
	s_cbranch_execz .LBB41_3
.LBB41_10:                              ;   Parent Loop BB41_6 Depth=1
                                        ; =>  This Loop Header: Depth=2
                                        ;       Child Loop BB41_14 Depth 3
                                        ;       Child Loop BB41_31 Depth 3
	;; [unrolled: 1-line block ×3, first 2 shown]
	v_ashrrev_i32_e32 v5, 31, v4
	v_mov_b32_e32 v23, 0
	v_mov_b32_e32 v24, 0
	v_lshlrev_b64 v[7:8], 2, v[4:5]
	v_add_co_u32 v7, vcc_lo, s28, v7
	v_add_co_ci_u32_e64 v8, null, s29, v8, vcc_lo
	global_load_dword v2, v[7:8], off
	s_waitcnt vmcnt(0)
	v_subrev_nc_u32_e32 v7, s35, v2
	v_mov_b32_e32 v2, 0
	v_ashrrev_i32_e32 v8, 31, v7
	v_lshlrev_b64 v[9:10], 2, v[7:8]
	v_add_co_u32 v11, vcc_lo, s8, v9
	v_add_co_ci_u32_e64 v12, null, s9, v10, vcc_lo
	v_add_co_u32 v9, vcc_lo, s10, v9
	v_add_co_ci_u32_e64 v10, null, s11, v10, vcc_lo
	global_load_dword v11, v[11:12], off
	global_load_dword v10, v[9:10], off
	s_waitcnt vmcnt(1)
	v_subrev_nc_u32_e32 v9, s37, v11
	s_waitcnt vmcnt(0)
	v_sub_nc_u32_e32 v25, v10, v11
	v_mov_b32_e32 v10, v2
	s_and_saveexec_b32 s42, s0
	s_cbranch_execz .LBB41_18
; %bb.11:                               ;   in Loop: Header=BB41_10 Depth=2
	v_ashrrev_i32_e32 v10, 31, v9
	v_mov_b32_e32 v23, 0
	v_mov_b32_e32 v2, 0
	;; [unrolled: 1-line block ×3, first 2 shown]
	s_mov_b32 s43, 0
	v_lshlrev_b64 v[26:27], 2, v[9:10]
	v_lshlrev_b64 v[10:11], 3, v[9:10]
                                        ; implicit-def: $sgpr44
	v_add_co_u32 v12, vcc_lo, s12, v26
	v_add_co_ci_u32_e64 v26, null, s13, v27, vcc_lo
	v_add_co_u32 v27, vcc_lo, s14, v10
	v_add_co_ci_u32_e64 v28, null, s15, v11, vcc_lo
	v_mov_b32_e32 v10, 0
	s_branch .LBB41_14
.LBB41_12:                              ;   in Loop: Header=BB41_14 Depth=3
	s_or_b32 exec_lo, exec_lo, s1
	v_cmp_le_i32_e32 vcc_lo, v29, v30
	v_cmp_ge_i32_e64 s1, v29, v30
	v_add_co_ci_u32_e64 v2, null, 0, v2, vcc_lo
	v_add_co_ci_u32_e64 v10, null, 0, v10, s1
	s_andn2_b32 s1, s44, exec_lo
	v_cmp_ge_i32_e32 vcc_lo, v2, v18
	s_and_b32 s44, vcc_lo, exec_lo
	s_or_b32 s44, s1, s44
.LBB41_13:                              ;   in Loop: Header=BB41_14 Depth=3
	s_or_b32 exec_lo, exec_lo, s45
	s_and_b32 s1, exec_lo, s44
	s_or_b32 s43, s1, s43
	s_andn2_b32 exec_lo, exec_lo, s43
	s_cbranch_execz .LBB41_17
.LBB41_14:                              ;   Parent Loop BB41_6 Depth=1
                                        ;     Parent Loop BB41_10 Depth=2
                                        ; =>    This Inner Loop Header: Depth=3
	s_or_b32 s44, s44, exec_lo
	s_mov_b32 s45, exec_lo
	v_cmpx_lt_i32_e64 v10, v25
	s_cbranch_execz .LBB41_13
; %bb.15:                               ;   in Loop: Header=BB41_14 Depth=3
	v_mov_b32_e32 v11, v3
	v_lshlrev_b64 v[29:30], 2, v[2:3]
	s_mov_b32 s1, exec_lo
	v_lshlrev_b64 v[31:32], 2, v[10:11]
	v_add_co_u32 v29, vcc_lo, v19, v29
	v_add_co_ci_u32_e64 v30, null, v20, v30, vcc_lo
	v_add_co_u32 v31, vcc_lo, v12, v31
	v_add_co_ci_u32_e64 v32, null, v26, v32, vcc_lo
	global_load_dword v29, v[29:30], off
	global_load_dword v30, v[31:32], off
	s_waitcnt vmcnt(1)
	v_subrev_nc_u32_e32 v29, s36, v29
	s_waitcnt vmcnt(0)
	v_subrev_nc_u32_e32 v30, s37, v30
	v_cmpx_eq_u32_e64 v29, v30
	s_cbranch_execz .LBB41_12
; %bb.16:                               ;   in Loop: Header=BB41_14 Depth=3
	v_lshlrev_b64 v[31:32], 3, v[2:3]
	v_lshlrev_b64 v[33:34], 3, v[10:11]
	v_add_co_u32 v31, vcc_lo, v21, v31
	v_add_co_ci_u32_e64 v32, null, v22, v32, vcc_lo
	v_add_co_u32 v33, vcc_lo, v27, v33
	v_add_co_ci_u32_e64 v34, null, v28, v34, vcc_lo
	global_load_dwordx2 v[31:32], v[31:32], off
	global_load_dwordx2 v[33:34], v[33:34], off
	s_waitcnt vmcnt(0)
	v_fmac_f32_e32 v23, v31, v33
	v_fmac_f32_e32 v24, v32, v33
	v_fma_f32 v23, -v32, v34, v23
	v_fmac_f32_e32 v24, v31, v34
	s_branch .LBB41_12
.LBB41_17:                              ;   in Loop: Header=BB41_10 Depth=2
	s_or_b32 exec_lo, exec_lo, s43
.LBB41_18:                              ;   in Loop: Header=BB41_10 Depth=2
	s_or_b32 exec_lo, exec_lo, s42
	s_mov_b32 s1, exec_lo
	v_cmpx_ge_i32_e64 v10, v25
	s_xor_b32 s1, exec_lo, s1
	s_cbranch_execnz .LBB41_28
; %bb.19:                               ;   in Loop: Header=BB41_10 Depth=2
	s_andn2_saveexec_b32 s1, s1
	s_cbranch_execnz .LBB41_37
.LBB41_20:                              ;   in Loop: Header=BB41_10 Depth=2
	s_or_b32 exec_lo, exec_lo, s1
	s_mov_b32 s1, exec_lo
	v_cmpx_eq_u32_e64 v1, v7
	s_cbranch_execz .LBB41_22
.LBB41_21:                              ;   in Loop: Header=BB41_10 Depth=2
	v_lshlrev_b64 v[7:8], 3, v[7:8]
	v_add_co_u32 v7, vcc_lo, s2, v7
	v_add_co_ci_u32_e64 v8, null, s3, v8, vcc_lo
	global_load_dwordx2 v[7:8], v[7:8], off
	s_waitcnt vmcnt(0)
	v_add_f32_e32 v23, v23, v7
	v_add_f32_e32 v24, v24, v8
.LBB41_22:                              ;   in Loop: Header=BB41_10 Depth=2
	s_or_b32 exec_lo, exec_lo, s1
	v_lshlrev_b64 v[7:8], 3, v[4:5]
	s_mov_b32 s1, exec_lo
	v_add_co_u32 v7, vcc_lo, s30, v7
	v_add_co_ci_u32_e64 v8, null, s31, v8, vcc_lo
	global_load_dwordx2 v[7:8], v[7:8], off
	s_waitcnt vmcnt(0)
	v_sub_f32_e32 v2, v7, v23
	v_sub_f32_e32 v8, v8, v24
                                        ; implicit-def: $vgpr7
	v_cmp_gt_f32_e32 vcc_lo, 0, v2
	v_cndmask_b32_e64 v2, v2, -v2, vcc_lo
	v_cmp_gt_f32_e32 vcc_lo, 0, v8
	v_cndmask_b32_e64 v5, v8, -v8, vcc_lo
	v_cmpx_ngt_f32_e32 v2, v5
	s_xor_b32 s42, exec_lo, s1
	s_cbranch_execz .LBB41_26
; %bb.23:                               ;   in Loop: Header=BB41_10 Depth=2
	v_mov_b32_e32 v7, 0
	s_mov_b32 s43, exec_lo
	v_cmpx_neq_f32_e32 0, v8
	s_cbranch_execz .LBB41_25
; %bb.24:                               ;   in Loop: Header=BB41_10 Depth=2
	v_div_scale_f32 v7, null, v5, v5, v2
	v_div_scale_f32 v10, vcc_lo, v2, v5, v2
	v_rcp_f32_e32 v8, v7
	v_fma_f32 v9, -v7, v8, 1.0
	v_fmac_f32_e32 v8, v9, v8
	v_mul_f32_e32 v9, v10, v8
	v_fma_f32 v11, -v7, v9, v10
	v_fmac_f32_e32 v9, v11, v8
	v_fma_f32 v7, -v7, v9, v10
	v_div_fmas_f32 v7, v7, v8, v9
	v_div_fixup_f32 v2, v7, v5, v2
	v_fma_f32 v2, v2, v2, 1.0
	v_mul_f32_e32 v7, 0x4f800000, v2
	v_cmp_gt_f32_e32 vcc_lo, 0xf800000, v2
	v_cndmask_b32_e32 v2, v2, v7, vcc_lo
	v_sqrt_f32_e32 v7, v2
	v_add_nc_u32_e32 v8, -1, v7
	v_add_nc_u32_e32 v9, 1, v7
	v_fma_f32 v10, -v8, v7, v2
	v_fma_f32 v11, -v9, v7, v2
	v_cmp_ge_f32_e64 s1, 0, v10
	v_cndmask_b32_e64 v7, v7, v8, s1
	v_cmp_lt_f32_e64 s1, 0, v11
	v_cndmask_b32_e64 v7, v7, v9, s1
	v_mul_f32_e32 v8, 0x37800000, v7
	v_cndmask_b32_e32 v7, v7, v8, vcc_lo
	v_cmp_class_f32_e64 vcc_lo, v2, 0x260
	v_cndmask_b32_e32 v2, v7, v2, vcc_lo
	v_mul_f32_e32 v7, v5, v2
.LBB41_25:                              ;   in Loop: Header=BB41_10 Depth=2
	s_or_b32 exec_lo, exec_lo, s43
                                        ; implicit-def: $vgpr2
                                        ; implicit-def: $vgpr5
.LBB41_26:                              ;   in Loop: Header=BB41_10 Depth=2
	s_andn2_saveexec_b32 s42, s42
	s_cbranch_execz .LBB41_9
; %bb.27:                               ;   in Loop: Header=BB41_10 Depth=2
	v_div_scale_f32 v7, null, v2, v2, v5
	v_div_scale_f32 v10, vcc_lo, v5, v2, v5
	v_rcp_f32_e32 v8, v7
	v_fma_f32 v9, -v7, v8, 1.0
	v_fmac_f32_e32 v8, v9, v8
	v_mul_f32_e32 v9, v10, v8
	v_fma_f32 v11, -v7, v9, v10
	v_fmac_f32_e32 v9, v11, v8
	v_fma_f32 v7, -v7, v9, v10
	v_div_fmas_f32 v7, v7, v8, v9
	v_div_fixup_f32 v5, v7, v2, v5
	v_fma_f32 v5, v5, v5, 1.0
	v_mul_f32_e32 v7, 0x4f800000, v5
	v_cmp_gt_f32_e32 vcc_lo, 0xf800000, v5
	v_cndmask_b32_e32 v5, v5, v7, vcc_lo
	v_sqrt_f32_e32 v7, v5
	v_add_nc_u32_e32 v8, -1, v7
	v_add_nc_u32_e32 v9, 1, v7
	v_fma_f32 v10, -v8, v7, v5
	v_fma_f32 v11, -v9, v7, v5
	v_cmp_ge_f32_e64 s1, 0, v10
	v_cndmask_b32_e64 v7, v7, v8, s1
	v_cmp_lt_f32_e64 s1, 0, v11
	v_cndmask_b32_e64 v7, v7, v9, s1
	v_mul_f32_e32 v8, 0x37800000, v7
	v_cndmask_b32_e32 v7, v7, v8, vcc_lo
	v_cmp_class_f32_e64 vcc_lo, v5, 0x260
	v_cndmask_b32_e32 v5, v7, v5, vcc_lo
	v_mul_f32_e32 v7, v2, v5
	s_branch .LBB41_9
.LBB41_28:                              ;   in Loop: Header=BB41_10 Depth=2
	s_mov_b32 s42, exec_lo
	v_cmpx_lt_i32_e64 v2, v18
	s_cbranch_execz .LBB41_36
; %bb.29:                               ;   in Loop: Header=BB41_10 Depth=2
	s_mov_b32 s44, 0
                                        ; implicit-def: $sgpr43
                                        ; implicit-def: $sgpr46
                                        ; implicit-def: $sgpr45
	s_inst_prefetch 0x1
	s_branch .LBB41_31
	.p2align	6
.LBB41_30:                              ;   in Loop: Header=BB41_31 Depth=3
	s_or_b32 exec_lo, exec_lo, s47
	s_and_b32 s47, exec_lo, s46
	s_or_b32 s44, s47, s44
	s_andn2_b32 s43, s43, exec_lo
	s_and_b32 s47, s45, exec_lo
	s_or_b32 s43, s43, s47
	s_andn2_b32 exec_lo, exec_lo, s44
	s_cbranch_execz .LBB41_33
.LBB41_31:                              ;   Parent Loop BB41_6 Depth=1
                                        ;     Parent Loop BB41_10 Depth=2
                                        ; =>    This Inner Loop Header: Depth=3
	v_add_nc_u32_e32 v9, v6, v2
	s_or_b32 s45, s45, exec_lo
	s_or_b32 s46, s46, exec_lo
	s_mov_b32 s47, exec_lo
	v_ashrrev_i32_e32 v10, 31, v9
	v_lshlrev_b64 v[11:12], 2, v[9:10]
	v_add_co_u32 v11, vcc_lo, s20, v11
	v_add_co_ci_u32_e64 v12, null, s21, v12, vcc_lo
	global_load_dword v11, v[11:12], off
	s_waitcnt vmcnt(0)
	v_subrev_nc_u32_e32 v11, s36, v11
	v_cmpx_ne_u32_e64 v11, v7
	s_cbranch_execz .LBB41_30
; %bb.32:                               ;   in Loop: Header=BB41_31 Depth=3
	v_add_nc_u32_e32 v2, 1, v2
	s_andn2_b32 s46, s46, exec_lo
	s_andn2_b32 s45, s45, exec_lo
	v_cmp_ge_i32_e32 vcc_lo, v2, v18
	s_and_b32 s48, vcc_lo, exec_lo
	s_or_b32 s46, s46, s48
	s_branch .LBB41_30
.LBB41_33:                              ;   in Loop: Header=BB41_10 Depth=2
	s_inst_prefetch 0x2
	s_or_b32 exec_lo, exec_lo, s44
	s_and_saveexec_b32 s44, s43
	s_xor_b32 s43, exec_lo, s44
	s_cbranch_execz .LBB41_35
; %bb.34:                               ;   in Loop: Header=BB41_10 Depth=2
	v_lshlrev_b64 v[9:10], 3, v[9:10]
	v_lshlrev_b64 v[11:12], 3, v[7:8]
	v_add_co_u32 v9, vcc_lo, s22, v9
	v_add_co_ci_u32_e64 v10, null, s23, v10, vcc_lo
	v_add_co_u32 v11, vcc_lo, s2, v11
	v_add_co_ci_u32_e64 v12, null, s3, v12, vcc_lo
	global_load_dwordx2 v[9:10], v[9:10], off
	global_load_dwordx2 v[11:12], v[11:12], off
	s_waitcnt vmcnt(0)
	v_mul_f32_e64 v2, v12, -v10
	v_mul_f32_e32 v12, v12, v9
	v_fmac_f32_e32 v2, v9, v11
	v_fmac_f32_e32 v12, v10, v11
	v_add_f32_e32 v23, v23, v2
	v_add_f32_e32 v24, v24, v12
.LBB41_35:                              ;   in Loop: Header=BB41_10 Depth=2
	s_or_b32 exec_lo, exec_lo, s43
.LBB41_36:                              ;   in Loop: Header=BB41_10 Depth=2
	s_or_b32 exec_lo, exec_lo, s42
                                        ; implicit-def: $vgpr10
                                        ; implicit-def: $vgpr9
                                        ; implicit-def: $vgpr25
	s_andn2_saveexec_b32 s1, s1
	s_cbranch_execz .LBB41_20
.LBB41_37:                              ;   in Loop: Header=BB41_10 Depth=2
	s_mov_b32 s43, 0
                                        ; implicit-def: $sgpr42
                                        ; implicit-def: $sgpr45
                                        ; implicit-def: $sgpr44
	s_inst_prefetch 0x1
	s_branch .LBB41_39
	.p2align	6
.LBB41_38:                              ;   in Loop: Header=BB41_39 Depth=3
	s_or_b32 exec_lo, exec_lo, s46
	s_and_b32 s46, exec_lo, s45
	s_or_b32 s43, s46, s43
	s_andn2_b32 s42, s42, exec_lo
	s_and_b32 s46, s44, exec_lo
	s_or_b32 s42, s42, s46
	s_andn2_b32 exec_lo, exec_lo, s43
	s_cbranch_execz .LBB41_41
.LBB41_39:                              ;   Parent Loop BB41_6 Depth=1
                                        ;     Parent Loop BB41_10 Depth=2
                                        ; =>    This Inner Loop Header: Depth=3
	v_add_nc_u32_e32 v11, v9, v10
	s_or_b32 s44, s44, exec_lo
	s_or_b32 s45, s45, exec_lo
	s_mov_b32 s46, exec_lo
	v_ashrrev_i32_e32 v12, 31, v11
	v_lshlrev_b64 v[26:27], 2, v[11:12]
	v_add_co_u32 v26, vcc_lo, s12, v26
	v_add_co_ci_u32_e64 v27, null, s13, v27, vcc_lo
	global_load_dword v2, v[26:27], off
	s_waitcnt vmcnt(0)
	v_subrev_nc_u32_e32 v2, s37, v2
	v_cmpx_ne_u32_e64 v2, v1
	s_cbranch_execz .LBB41_38
; %bb.40:                               ;   in Loop: Header=BB41_39 Depth=3
	v_add_nc_u32_e32 v10, 1, v10
	s_andn2_b32 s45, s45, exec_lo
	s_andn2_b32 s44, s44, exec_lo
	v_cmp_ge_i32_e32 vcc_lo, v10, v25
	s_and_b32 s47, vcc_lo, exec_lo
	s_or_b32 s45, s45, s47
	s_branch .LBB41_38
.LBB41_41:                              ;   in Loop: Header=BB41_10 Depth=2
	s_inst_prefetch 0x2
	s_or_b32 exec_lo, exec_lo, s43
	s_and_saveexec_b32 s43, s42
	s_xor_b32 s42, exec_lo, s43
	s_cbranch_execz .LBB41_43
; %bb.42:                               ;   in Loop: Header=BB41_10 Depth=2
	v_lshlrev_b64 v[9:10], 3, v[11:12]
	v_add_co_u32 v9, vcc_lo, s14, v9
	v_add_co_ci_u32_e64 v10, null, s15, v10, vcc_lo
	global_load_dwordx2 v[9:10], v[9:10], off
	s_waitcnt vmcnt(0)
	v_add_f32_e32 v23, v23, v9
	v_add_f32_e32 v24, v24, v10
.LBB41_43:                              ;   in Loop: Header=BB41_10 Depth=2
	s_or_b32 exec_lo, exec_lo, s42
	s_or_b32 exec_lo, exec_lo, s1
	s_mov_b32 s1, exec_lo
	v_cmpx_eq_u32_e64 v1, v7
	s_cbranch_execnz .LBB41_21
	s_branch .LBB41_22
.LBB41_44:
	s_or_b32 exec_lo, exec_lo, s38
.LBB41_45:
	s_or_b32 exec_lo, exec_lo, s33
.LBB41_46:
	s_or_b32 exec_lo, exec_lo, s6
	v_mbcnt_lo_u32_b32 v1, -1, 0
	s_mov_b32 s0, exec_lo
	v_or_b32_e32 v2, 32, v1
	v_xor_b32_e32 v3, 16, v1
	v_xor_b32_e32 v4, 8, v1
	v_cmp_gt_i32_e32 vcc_lo, 32, v2
	v_cndmask_b32_e32 v2, v1, v2, vcc_lo
	v_cmp_gt_i32_e32 vcc_lo, 32, v3
	v_lshlrev_b32_e32 v2, 2, v2
	v_cndmask_b32_e32 v3, v1, v3, vcc_lo
	ds_bpermute_b32 v2, v2, v15
	v_lshlrev_b32_e32 v3, 2, v3
	s_waitcnt lgkmcnt(0)
	v_cmp_lt_f32_e32 vcc_lo, v15, v2
	v_cndmask_b32_e32 v2, v15, v2, vcc_lo
	v_cmp_gt_i32_e32 vcc_lo, 32, v4
	ds_bpermute_b32 v3, v3, v2
	v_cndmask_b32_e32 v4, v1, v4, vcc_lo
	v_lshlrev_b32_e32 v4, 2, v4
	s_waitcnt lgkmcnt(0)
	v_cmp_lt_f32_e32 vcc_lo, v2, v3
	v_cndmask_b32_e32 v2, v2, v3, vcc_lo
	ds_bpermute_b32 v3, v4, v2
	v_xor_b32_e32 v4, 4, v1
	v_cmp_gt_i32_e32 vcc_lo, 32, v4
	v_cndmask_b32_e32 v4, v1, v4, vcc_lo
	v_lshlrev_b32_e32 v4, 2, v4
	s_waitcnt lgkmcnt(0)
	v_cmp_lt_f32_e32 vcc_lo, v2, v3
	v_cndmask_b32_e32 v2, v2, v3, vcc_lo
	ds_bpermute_b32 v3, v4, v2
	v_xor_b32_e32 v4, 2, v1
	v_cmp_gt_i32_e32 vcc_lo, 32, v4
	;; [unrolled: 8-line block ×3, first 2 shown]
	v_cndmask_b32_e32 v4, v1, v4, vcc_lo
	s_waitcnt lgkmcnt(0)
	v_cmp_lt_f32_e32 vcc_lo, v2, v3
	v_cndmask_b32_e32 v1, v2, v3, vcc_lo
	v_lshlrev_b32_e32 v2, 2, v4
	ds_bpermute_b32 v2, v2, v1
	v_cmpx_eq_u32_e32 63, v14
	s_cbranch_execz .LBB41_48
; %bb.47:
	s_waitcnt lgkmcnt(0)
	v_cmp_lt_f32_e32 vcc_lo, v1, v2
	v_lshlrev_b32_e32 v3, 2, v13
	v_cndmask_b32_e32 v1, v1, v2, vcc_lo
	ds_write_b32 v3, v1
.LBB41_48:
	s_or_b32 exec_lo, exec_lo, s0
	v_lshlrev_b32_e32 v1, 2, v0
	s_mov_b32 s0, exec_lo
	s_waitcnt lgkmcnt(0)
	s_barrier
	buffer_gl0_inv
	v_cmpx_gt_u32_e32 8, v0
	s_cbranch_execz .LBB41_50
; %bb.49:
	ds_read2_b32 v[2:3], v1 offset1:8
	s_waitcnt lgkmcnt(0)
	v_cmp_lt_f32_e32 vcc_lo, v2, v3
	v_cndmask_b32_e32 v2, v2, v3, vcc_lo
	ds_write_b32 v1, v2
.LBB41_50:
	s_or_b32 exec_lo, exec_lo, s0
	s_mov_b32 s0, exec_lo
	s_waitcnt lgkmcnt(0)
	s_barrier
	buffer_gl0_inv
	v_cmpx_gt_u32_e32 4, v0
	s_cbranch_execz .LBB41_52
; %bb.51:
	ds_read2_b32 v[2:3], v1 offset1:4
	s_waitcnt lgkmcnt(0)
	v_cmp_lt_f32_e32 vcc_lo, v2, v3
	v_cndmask_b32_e32 v2, v2, v3, vcc_lo
	ds_write_b32 v1, v2
.LBB41_52:
	s_or_b32 exec_lo, exec_lo, s0
	;; [unrolled: 14-line block ×3, first 2 shown]
	v_cmp_eq_u32_e32 vcc_lo, 0, v0
	s_waitcnt lgkmcnt(0)
	s_barrier
	buffer_gl0_inv
	s_and_saveexec_b32 s1, vcc_lo
	s_cbranch_execz .LBB41_56
; %bb.55:
	v_mov_b32_e32 v2, 0
	ds_read_b64 v[0:1], v2
	s_waitcnt lgkmcnt(0)
	v_cmp_lt_f32_e64 s0, v0, v1
	v_cndmask_b32_e64 v0, v0, v1, s0
	ds_write_b32 v2, v0
.LBB41_56:
	s_or_b32 exec_lo, exec_lo, s1
	s_waitcnt lgkmcnt(0)
	s_barrier
	buffer_gl0_inv
	s_and_saveexec_b32 s0, vcc_lo
	s_cbranch_execz .LBB41_60
; %bb.57:
	v_mbcnt_lo_u32_b32 v0, exec_lo, 0
	s_mov_b32 s6, 0
	v_cmp_eq_u32_e32 vcc_lo, 0, v0
	s_and_b32 exec_lo, exec_lo, vcc_lo
	s_cbranch_execz .LBB41_60
; %bb.58:
	s_load_dwordx4 s[0:3], s[4:5], 0x88
	v_mov_b32_e32 v2, 0
	ds_read_b32 v0, v2
	s_waitcnt lgkmcnt(0)
	s_load_dword s2, s[2:3], 0x0
	s_load_dword s3, s[0:1], 0x0
	s_waitcnt lgkmcnt(0)
	v_div_scale_f32 v1, null, s2, s2, v0
	v_rcp_f32_e32 v3, v1
	v_fma_f32 v4, -v1, v3, 1.0
	v_fmac_f32_e32 v3, v4, v3
	v_div_scale_f32 v4, vcc_lo, v0, s2, v0
	v_mul_f32_e32 v5, v4, v3
	v_fma_f32 v6, -v1, v5, v4
	v_fmac_f32_e32 v5, v6, v3
	v_fma_f32 v1, -v1, v5, v4
	v_div_fmas_f32 v1, v1, v3, v5
	v_div_fixup_f32 v0, v1, s2, v0
	v_mov_b32_e32 v1, s3
	v_max_f32_e32 v3, v0, v0
.LBB41_59:                              ; =>This Inner Loop Header: Depth=1
	v_max_f32_e32 v0, v1, v1
	v_max_f32_e32 v0, v0, v3
	global_atomic_cmpswap v0, v2, v[0:1], s[0:1] glc
	s_waitcnt vmcnt(0)
	v_cmp_eq_u32_e32 vcc_lo, v0, v1
	v_mov_b32_e32 v1, v0
	s_or_b32 s6, vcc_lo, s6
	s_andn2_b32 exec_lo, exec_lo, s6
	s_cbranch_execnz .LBB41_59
.LBB41_60:
	s_endpgm
	.section	.rodata,"a",@progbits
	.p2align	6, 0x0
	.amdhsa_kernel _ZN9rocsparseL19kernel_nrm_residualILi1024ELi64E21rocsparse_complex_numIfEiiEEvT3_T2_PKS4_S6_PKS3_PKT1_21rocsparse_index_base_S6_S6_S8_SB_SC_S6_S6_S8_SB_SC_SB_PNS_15floating_traitsIS9_E6data_tEPKSF_
		.amdhsa_group_segment_fixed_size 64
		.amdhsa_private_segment_fixed_size 0
		.amdhsa_kernarg_size 152
		.amdhsa_user_sgpr_count 6
		.amdhsa_user_sgpr_private_segment_buffer 1
		.amdhsa_user_sgpr_dispatch_ptr 0
		.amdhsa_user_sgpr_queue_ptr 0
		.amdhsa_user_sgpr_kernarg_segment_ptr 1
		.amdhsa_user_sgpr_dispatch_id 0
		.amdhsa_user_sgpr_flat_scratch_init 0
		.amdhsa_user_sgpr_private_segment_size 0
		.amdhsa_wavefront_size32 1
		.amdhsa_uses_dynamic_stack 0
		.amdhsa_system_sgpr_private_segment_wavefront_offset 0
		.amdhsa_system_sgpr_workgroup_id_x 1
		.amdhsa_system_sgpr_workgroup_id_y 0
		.amdhsa_system_sgpr_workgroup_id_z 0
		.amdhsa_system_sgpr_workgroup_info 0
		.amdhsa_system_vgpr_workitem_id 0
		.amdhsa_next_free_vgpr 35
		.amdhsa_next_free_sgpr 49
		.amdhsa_reserve_vcc 1
		.amdhsa_reserve_flat_scratch 0
		.amdhsa_float_round_mode_32 0
		.amdhsa_float_round_mode_16_64 0
		.amdhsa_float_denorm_mode_32 3
		.amdhsa_float_denorm_mode_16_64 3
		.amdhsa_dx10_clamp 1
		.amdhsa_ieee_mode 1
		.amdhsa_fp16_overflow 0
		.amdhsa_workgroup_processor_mode 1
		.amdhsa_memory_ordered 1
		.amdhsa_forward_progress 1
		.amdhsa_shared_vgpr_count 0
		.amdhsa_exception_fp_ieee_invalid_op 0
		.amdhsa_exception_fp_denorm_src 0
		.amdhsa_exception_fp_ieee_div_zero 0
		.amdhsa_exception_fp_ieee_overflow 0
		.amdhsa_exception_fp_ieee_underflow 0
		.amdhsa_exception_fp_ieee_inexact 0
		.amdhsa_exception_int_div_zero 0
	.end_amdhsa_kernel
	.section	.text._ZN9rocsparseL19kernel_nrm_residualILi1024ELi64E21rocsparse_complex_numIfEiiEEvT3_T2_PKS4_S6_PKS3_PKT1_21rocsparse_index_base_S6_S6_S8_SB_SC_S6_S6_S8_SB_SC_SB_PNS_15floating_traitsIS9_E6data_tEPKSF_,"axG",@progbits,_ZN9rocsparseL19kernel_nrm_residualILi1024ELi64E21rocsparse_complex_numIfEiiEEvT3_T2_PKS4_S6_PKS3_PKT1_21rocsparse_index_base_S6_S6_S8_SB_SC_S6_S6_S8_SB_SC_SB_PNS_15floating_traitsIS9_E6data_tEPKSF_,comdat
.Lfunc_end41:
	.size	_ZN9rocsparseL19kernel_nrm_residualILi1024ELi64E21rocsparse_complex_numIfEiiEEvT3_T2_PKS4_S6_PKS3_PKT1_21rocsparse_index_base_S6_S6_S8_SB_SC_S6_S6_S8_SB_SC_SB_PNS_15floating_traitsIS9_E6data_tEPKSF_, .Lfunc_end41-_ZN9rocsparseL19kernel_nrm_residualILi1024ELi64E21rocsparse_complex_numIfEiiEEvT3_T2_PKS4_S6_PKS3_PKT1_21rocsparse_index_base_S6_S6_S8_SB_SC_S6_S6_S8_SB_SC_SB_PNS_15floating_traitsIS9_E6data_tEPKSF_
                                        ; -- End function
	.set _ZN9rocsparseL19kernel_nrm_residualILi1024ELi64E21rocsparse_complex_numIfEiiEEvT3_T2_PKS4_S6_PKS3_PKT1_21rocsparse_index_base_S6_S6_S8_SB_SC_S6_S6_S8_SB_SC_SB_PNS_15floating_traitsIS9_E6data_tEPKSF_.num_vgpr, 35
	.set _ZN9rocsparseL19kernel_nrm_residualILi1024ELi64E21rocsparse_complex_numIfEiiEEvT3_T2_PKS4_S6_PKS3_PKT1_21rocsparse_index_base_S6_S6_S8_SB_SC_S6_S6_S8_SB_SC_SB_PNS_15floating_traitsIS9_E6data_tEPKSF_.num_agpr, 0
	.set _ZN9rocsparseL19kernel_nrm_residualILi1024ELi64E21rocsparse_complex_numIfEiiEEvT3_T2_PKS4_S6_PKS3_PKT1_21rocsparse_index_base_S6_S6_S8_SB_SC_S6_S6_S8_SB_SC_SB_PNS_15floating_traitsIS9_E6data_tEPKSF_.numbered_sgpr, 49
	.set _ZN9rocsparseL19kernel_nrm_residualILi1024ELi64E21rocsparse_complex_numIfEiiEEvT3_T2_PKS4_S6_PKS3_PKT1_21rocsparse_index_base_S6_S6_S8_SB_SC_S6_S6_S8_SB_SC_SB_PNS_15floating_traitsIS9_E6data_tEPKSF_.num_named_barrier, 0
	.set _ZN9rocsparseL19kernel_nrm_residualILi1024ELi64E21rocsparse_complex_numIfEiiEEvT3_T2_PKS4_S6_PKS3_PKT1_21rocsparse_index_base_S6_S6_S8_SB_SC_S6_S6_S8_SB_SC_SB_PNS_15floating_traitsIS9_E6data_tEPKSF_.private_seg_size, 0
	.set _ZN9rocsparseL19kernel_nrm_residualILi1024ELi64E21rocsparse_complex_numIfEiiEEvT3_T2_PKS4_S6_PKS3_PKT1_21rocsparse_index_base_S6_S6_S8_SB_SC_S6_S6_S8_SB_SC_SB_PNS_15floating_traitsIS9_E6data_tEPKSF_.uses_vcc, 1
	.set _ZN9rocsparseL19kernel_nrm_residualILi1024ELi64E21rocsparse_complex_numIfEiiEEvT3_T2_PKS4_S6_PKS3_PKT1_21rocsparse_index_base_S6_S6_S8_SB_SC_S6_S6_S8_SB_SC_SB_PNS_15floating_traitsIS9_E6data_tEPKSF_.uses_flat_scratch, 0
	.set _ZN9rocsparseL19kernel_nrm_residualILi1024ELi64E21rocsparse_complex_numIfEiiEEvT3_T2_PKS4_S6_PKS3_PKT1_21rocsparse_index_base_S6_S6_S8_SB_SC_S6_S6_S8_SB_SC_SB_PNS_15floating_traitsIS9_E6data_tEPKSF_.has_dyn_sized_stack, 0
	.set _ZN9rocsparseL19kernel_nrm_residualILi1024ELi64E21rocsparse_complex_numIfEiiEEvT3_T2_PKS4_S6_PKS3_PKT1_21rocsparse_index_base_S6_S6_S8_SB_SC_S6_S6_S8_SB_SC_SB_PNS_15floating_traitsIS9_E6data_tEPKSF_.has_recursion, 0
	.set _ZN9rocsparseL19kernel_nrm_residualILi1024ELi64E21rocsparse_complex_numIfEiiEEvT3_T2_PKS4_S6_PKS3_PKT1_21rocsparse_index_base_S6_S6_S8_SB_SC_S6_S6_S8_SB_SC_SB_PNS_15floating_traitsIS9_E6data_tEPKSF_.has_indirect_call, 0
	.section	.AMDGPU.csdata,"",@progbits
; Kernel info:
; codeLenInByte = 2944
; TotalNumSgprs: 51
; NumVgprs: 35
; ScratchSize: 0
; MemoryBound: 0
; FloatMode: 240
; IeeeMode: 1
; LDSByteSize: 64 bytes/workgroup (compile time only)
; SGPRBlocks: 0
; VGPRBlocks: 4
; NumSGPRsForWavesPerEU: 51
; NumVGPRsForWavesPerEU: 35
; Occupancy: 16
; WaveLimiterHint : 1
; COMPUTE_PGM_RSRC2:SCRATCH_EN: 0
; COMPUTE_PGM_RSRC2:USER_SGPR: 6
; COMPUTE_PGM_RSRC2:TRAP_HANDLER: 0
; COMPUTE_PGM_RSRC2:TGID_X_EN: 1
; COMPUTE_PGM_RSRC2:TGID_Y_EN: 0
; COMPUTE_PGM_RSRC2:TGID_Z_EN: 0
; COMPUTE_PGM_RSRC2:TIDIG_COMP_CNT: 0
	.section	.text._ZN9rocsparseL17kernel_correctionILi1024ELi1E21rocsparse_complex_numIdEiiEEvT3_T2_PKS4_S6_PKS3_PKT1_21rocsparse_index_base_S6_S6_S8_SB_PS9_SC_S6_S6_S8_SB_SD_SC_SB_SD_,"axG",@progbits,_ZN9rocsparseL17kernel_correctionILi1024ELi1E21rocsparse_complex_numIdEiiEEvT3_T2_PKS4_S6_PKS3_PKT1_21rocsparse_index_base_S6_S6_S8_SB_PS9_SC_S6_S6_S8_SB_SD_SC_SB_SD_,comdat
	.globl	_ZN9rocsparseL17kernel_correctionILi1024ELi1E21rocsparse_complex_numIdEiiEEvT3_T2_PKS4_S6_PKS3_PKT1_21rocsparse_index_base_S6_S6_S8_SB_PS9_SC_S6_S6_S8_SB_SD_SC_SB_SD_ ; -- Begin function _ZN9rocsparseL17kernel_correctionILi1024ELi1E21rocsparse_complex_numIdEiiEEvT3_T2_PKS4_S6_PKS3_PKT1_21rocsparse_index_base_S6_S6_S8_SB_PS9_SC_S6_S6_S8_SB_SD_SC_SB_SD_
	.p2align	8
	.type	_ZN9rocsparseL17kernel_correctionILi1024ELi1E21rocsparse_complex_numIdEiiEEvT3_T2_PKS4_S6_PKS3_PKT1_21rocsparse_index_base_S6_S6_S8_SB_PS9_SC_S6_S6_S8_SB_SD_SC_SB_SD_,@function
_ZN9rocsparseL17kernel_correctionILi1024ELi1E21rocsparse_complex_numIdEiiEEvT3_T2_PKS4_S6_PKS3_PKT1_21rocsparse_index_base_S6_S6_S8_SB_PS9_SC_S6_S6_S8_SB_SD_SC_SB_SD_: ; @_ZN9rocsparseL17kernel_correctionILi1024ELi1E21rocsparse_complex_numIdEiiEEvT3_T2_PKS4_S6_PKS3_PKT1_21rocsparse_index_base_S6_S6_S8_SB_PS9_SC_S6_S6_S8_SB_SD_SC_SB_SD_
; %bb.0:
	s_load_dword s33, s[4:5], 0x0
	s_lshl_b32 s34, s6, 10
	s_mov_b32 s0, exec_lo
	v_or_b32_e32 v0, s34, v0
	s_waitcnt lgkmcnt(0)
	v_cmpx_gt_i32_e64 s33, v0
	s_cbranch_execz .LBB42_51
; %bb.1:
	s_addk_i32 s34, 0x400
	v_cmp_gt_u32_e32 vcc_lo, s34, v0
	s_and_b32 exec_lo, exec_lo, vcc_lo
	s_cbranch_execz .LBB42_51
; %bb.2:
	s_clause 0x8
	s_load_dwordx4 s[36:39], s[4:5], 0x90
	s_load_dwordx8 s[8:15], s[4:5], 0x60
	s_load_dwordx8 s[16:23], s[4:5], 0x30
	;; [unrolled: 1-line block ×3, first 2 shown]
	s_load_dword s35, s[4:5], 0x28
	s_load_dwordx2 s[2:3], s[4:5], 0x50
	s_load_dword s40, s[4:5], 0x58
	s_load_dwordx2 s[6:7], s[4:5], 0x80
	s_load_dword s4, s[4:5], 0x88
	v_mov_b32_e32 v2, 0
	s_mov_b32 s5, 0
	s_branch .LBB42_4
.LBB42_3:                               ;   in Loop: Header=BB42_4 Depth=1
	s_or_b32 exec_lo, exec_lo, s41
	v_add_nc_u32_e32 v0, 0x400, v0
	v_cmp_le_u32_e32 vcc_lo, s34, v0
	s_or_b32 s5, vcc_lo, s5
	s_andn2_b32 exec_lo, exec_lo, s5
	s_cbranch_execz .LBB42_51
.LBB42_4:                               ; =>This Loop Header: Depth=1
                                        ;     Child Loop BB42_8 Depth 2
                                        ;       Child Loop BB42_12 Depth 3
                                        ;       Child Loop BB42_34 Depth 3
	;; [unrolled: 1-line block ×3, first 2 shown]
	s_mov_b32 s41, exec_lo
	v_cmpx_gt_i32_e64 s33, v0
	s_cbranch_execz .LBB42_3
; %bb.5:                                ;   in Loop: Header=BB42_4 Depth=1
	v_ashrrev_i32_e32 v1, 31, v0
	v_lshlrev_b64 v[3:4], 2, v[0:1]
	s_waitcnt lgkmcnt(0)
	v_add_co_u32 v5, vcc_lo, s24, v3
	v_add_co_ci_u32_e64 v6, null, s25, v4, vcc_lo
	v_add_co_u32 v7, vcc_lo, s26, v3
	v_add_co_ci_u32_e64 v8, null, s27, v4, vcc_lo
	global_load_dword v1, v[5:6], off
	global_load_dword v5, v[7:8], off
	s_waitcnt vmcnt(0)
	v_cmp_lt_i32_e32 vcc_lo, v1, v5
	s_and_b32 exec_lo, exec_lo, vcc_lo
	s_cbranch_execz .LBB42_3
; %bb.6:                                ;   in Loop: Header=BB42_4 Depth=1
	v_add_co_u32 v6, vcc_lo, s16, v3
	v_add_co_ci_u32_e64 v7, null, s17, v4, vcc_lo
	v_add_co_u32 v3, vcc_lo, s18, v3
	v_add_co_ci_u32_e64 v4, null, s19, v4, vcc_lo
	global_load_dword v8, v[6:7], off
	v_subrev_nc_u32_e32 v21, s35, v5
	v_subrev_nc_u32_e32 v5, s35, v1
	global_load_dword v9, v[3:4], off
	s_mov_b32 s42, 0
	s_waitcnt vmcnt(1)
	v_subrev_nc_u32_e32 v3, s40, v8
	s_waitcnt vmcnt(0)
	v_sub_nc_u32_e32 v22, v9, v8
	v_ashrrev_i32_e32 v4, 31, v3
	v_cmp_lt_i32_e64 s0, 0, v22
	v_lshlrev_b64 v[6:7], 2, v[3:4]
	v_lshlrev_b64 v[8:9], 4, v[3:4]
	v_add_co_u32 v4, vcc_lo, s20, v6
	v_add_co_ci_u32_e64 v23, null, s21, v7, vcc_lo
	v_add_co_u32 v24, vcc_lo, s22, v8
	v_add_co_ci_u32_e64 v25, null, s23, v9, vcc_lo
	s_branch .LBB42_8
.LBB42_7:                               ;   in Loop: Header=BB42_8 Depth=2
	s_or_b32 exec_lo, exec_lo, s43
	v_add_nc_u32_e32 v5, 1, v5
	v_cmp_ge_i32_e32 vcc_lo, v5, v21
	s_or_b32 s42, vcc_lo, s42
	s_andn2_b32 exec_lo, exec_lo, s42
	s_cbranch_execz .LBB42_3
.LBB42_8:                               ;   Parent Loop BB42_4 Depth=1
                                        ; =>  This Loop Header: Depth=2
                                        ;       Child Loop BB42_12 Depth 3
                                        ;       Child Loop BB42_34 Depth 3
	;; [unrolled: 1-line block ×3, first 2 shown]
	v_ashrrev_i32_e32 v6, 31, v5
	v_mov_b32_e32 v15, 0
	v_mov_b32_e32 v16, 0
	v_lshlrev_b64 v[7:8], 2, v[5:6]
	v_add_co_u32 v7, vcc_lo, s28, v7
	v_add_co_ci_u32_e64 v8, null, s29, v8, vcc_lo
	global_load_dword v1, v[7:8], off
	s_waitcnt vmcnt(0)
	v_subrev_nc_u32_e32 v7, s35, v1
	v_mov_b32_e32 v1, 0
	v_ashrrev_i32_e32 v8, 31, v7
	v_lshlrev_b64 v[9:10], 2, v[7:8]
	v_add_co_u32 v11, vcc_lo, s8, v9
	v_add_co_ci_u32_e64 v12, null, s9, v10, vcc_lo
	v_add_co_u32 v9, vcc_lo, s10, v9
	v_add_co_ci_u32_e64 v10, null, s11, v10, vcc_lo
	global_load_dword v12, v[11:12], off
	global_load_dword v13, v[9:10], off
	v_mov_b32_e32 v9, 0
	v_mov_b32_e32 v10, 0
	s_waitcnt vmcnt(1)
	v_subrev_nc_u32_e32 v11, s4, v12
	s_waitcnt vmcnt(0)
	v_sub_nc_u32_e32 v26, v13, v12
	v_mov_b32_e32 v12, v1
	s_and_saveexec_b32 s43, s0
	s_cbranch_execz .LBB42_16
; %bb.9:                                ;   in Loop: Header=BB42_8 Depth=2
	v_ashrrev_i32_e32 v12, 31, v11
	v_mov_b32_e32 v9, 0
	v_mov_b32_e32 v10, 0
	;; [unrolled: 1-line block ×3, first 2 shown]
	s_mov_b32 s44, 0
	v_lshlrev_b64 v[14:15], 2, v[11:12]
	v_lshlrev_b64 v[12:13], 4, v[11:12]
                                        ; implicit-def: $sgpr45
	v_add_co_u32 v14, vcc_lo, s12, v14
	v_add_co_ci_u32_e64 v17, null, s13, v15, vcc_lo
	v_add_co_u32 v18, vcc_lo, s14, v12
	v_mov_b32_e32 v15, 0
	v_add_co_ci_u32_e64 v19, null, s15, v13, vcc_lo
	v_mov_b32_e32 v12, 0
	v_mov_b32_e32 v16, 0
	s_branch .LBB42_12
.LBB42_10:                              ;   in Loop: Header=BB42_12 Depth=3
	s_or_b32 exec_lo, exec_lo, s1
	v_cmp_le_i32_e32 vcc_lo, v20, v27
	v_cmp_ge_i32_e64 s1, v20, v27
	v_add_co_ci_u32_e64 v1, null, 0, v1, vcc_lo
	v_add_co_ci_u32_e64 v12, null, 0, v12, s1
	s_andn2_b32 s1, s45, exec_lo
	v_cmp_ge_i32_e32 vcc_lo, v1, v22
	s_and_b32 s45, vcc_lo, exec_lo
	s_or_b32 s45, s1, s45
.LBB42_11:                              ;   in Loop: Header=BB42_12 Depth=3
	s_or_b32 exec_lo, exec_lo, s46
	s_and_b32 s1, exec_lo, s45
	s_or_b32 s44, s1, s44
	s_andn2_b32 exec_lo, exec_lo, s44
	s_cbranch_execz .LBB42_15
.LBB42_12:                              ;   Parent Loop BB42_4 Depth=1
                                        ;     Parent Loop BB42_8 Depth=2
                                        ; =>    This Inner Loop Header: Depth=3
	s_or_b32 s45, s45, exec_lo
	s_mov_b32 s46, exec_lo
	v_cmpx_lt_i32_e64 v12, v26
	s_cbranch_execz .LBB42_11
; %bb.13:                               ;   in Loop: Header=BB42_12 Depth=3
	v_mov_b32_e32 v13, v2
	v_lshlrev_b64 v[27:28], 2, v[1:2]
	s_mov_b32 s1, exec_lo
	v_lshlrev_b64 v[29:30], 2, v[12:13]
	v_add_co_u32 v27, vcc_lo, v4, v27
	v_add_co_ci_u32_e64 v28, null, v23, v28, vcc_lo
	v_add_co_u32 v29, vcc_lo, v14, v29
	v_add_co_ci_u32_e64 v30, null, v17, v30, vcc_lo
	global_load_dword v20, v[27:28], off
	global_load_dword v27, v[29:30], off
	s_waitcnt vmcnt(1)
	v_subrev_nc_u32_e32 v20, s40, v20
	s_waitcnt vmcnt(0)
	v_subrev_nc_u32_e32 v27, s4, v27
	v_cmpx_eq_u32_e64 v20, v27
	s_cbranch_execz .LBB42_10
; %bb.14:                               ;   in Loop: Header=BB42_12 Depth=3
	v_lshlrev_b64 v[28:29], 4, v[1:2]
	v_lshlrev_b64 v[30:31], 4, v[12:13]
	v_add_co_u32 v28, vcc_lo, v24, v28
	v_add_co_ci_u32_e64 v29, null, v25, v29, vcc_lo
	v_add_co_u32 v32, vcc_lo, v18, v30
	v_add_co_ci_u32_e64 v33, null, v19, v31, vcc_lo
	global_load_dwordx4 v[28:31], v[28:29], off
	global_load_dwordx4 v[32:35], v[32:33], off
	s_waitcnt vmcnt(0)
	v_fma_f64 v[9:10], v[28:29], v[32:33], v[9:10]
	v_fma_f64 v[15:16], v[30:31], v[32:33], v[15:16]
	v_fma_f64 v[9:10], -v[30:31], v[34:35], v[9:10]
	v_fma_f64 v[15:16], v[28:29], v[34:35], v[15:16]
	s_branch .LBB42_10
.LBB42_15:                              ;   in Loop: Header=BB42_8 Depth=2
	s_or_b32 exec_lo, exec_lo, s44
.LBB42_16:                              ;   in Loop: Header=BB42_8 Depth=2
	s_or_b32 exec_lo, exec_lo, s43
	v_lshlrev_b64 v[13:14], 4, v[5:6]
	v_cmp_le_i32_e64 s1, v0, v7
	s_mov_b32 s43, exec_lo
	v_add_co_u32 v13, vcc_lo, s30, v13
	v_add_co_ci_u32_e64 v14, null, s31, v14, vcc_lo
	global_load_dwordx4 v[17:20], v[13:14], off
	s_waitcnt vmcnt(0)
	v_add_f64 v[13:14], v[17:18], -v[9:10]
	v_add_f64 v[9:10], v[19:20], -v[15:16]
	v_cmpx_gt_i32_e64 v0, v7
	s_cbranch_execz .LBB42_18
; %bb.17:                               ;   in Loop: Header=BB42_8 Depth=2
	v_lshlrev_b64 v[15:16], 4, v[7:8]
	v_add_co_u32 v15, vcc_lo, s36, v15
	v_add_co_ci_u32_e64 v16, null, s37, v16, vcc_lo
	global_load_dwordx4 v[15:18], v[15:16], off
	s_waitcnt vmcnt(0)
	v_mul_f64 v[19:20], v[17:18], v[17:18]
	v_fma_f64 v[19:20], v[15:16], v[15:16], v[19:20]
	v_div_scale_f64 v[27:28], null, v[19:20], v[19:20], 1.0
	v_div_scale_f64 v[33:34], vcc_lo, 1.0, v[19:20], 1.0
	v_rcp_f64_e32 v[29:30], v[27:28]
	v_fma_f64 v[31:32], -v[27:28], v[29:30], 1.0
	v_fma_f64 v[29:30], v[29:30], v[31:32], v[29:30]
	v_fma_f64 v[31:32], -v[27:28], v[29:30], 1.0
	v_fma_f64 v[29:30], v[29:30], v[31:32], v[29:30]
	v_mul_f64 v[31:32], v[33:34], v[29:30]
	v_fma_f64 v[27:28], -v[27:28], v[31:32], v[33:34]
	v_div_fmas_f64 v[27:28], v[27:28], v[29:30], v[31:32]
	v_mul_f64 v[29:30], v[9:10], v[17:18]
	v_mul_f64 v[17:18], v[17:18], -v[13:14]
	v_div_fixup_f64 v[19:20], v[27:28], v[19:20], 1.0
	v_fma_f64 v[13:14], v[13:14], v[15:16], v[29:30]
	v_fma_f64 v[9:10], v[9:10], v[15:16], v[17:18]
	v_mul_f64 v[13:14], v[13:14], v[19:20]
	v_mul_f64 v[9:10], v[9:10], v[19:20]
.LBB42_18:                              ;   in Loop: Header=BB42_8 Depth=2
	s_or_b32 exec_lo, exec_lo, s43
	v_cmp_gt_f64_e32 vcc_lo, 0, v[13:14]
	v_xor_b32_e32 v6, 0x80000000, v14
	v_xor_b32_e32 v17, 0x80000000, v10
	v_mov_b32_e32 v15, v13
	s_mov_b32 s43, exec_lo
                                        ; implicit-def: $vgpr19_vgpr20
	v_cndmask_b32_e32 v16, v14, v6, vcc_lo
	v_cmp_gt_f64_e32 vcc_lo, 0, v[9:10]
	v_cndmask_b32_e32 v18, v10, v17, vcc_lo
	v_mov_b32_e32 v17, v9
	v_cmpx_ngt_f64_e32 v[15:16], v[17:18]
	s_xor_b32 s43, exec_lo, s43
	s_cbranch_execnz .LBB42_21
; %bb.19:                               ;   in Loop: Header=BB42_8 Depth=2
	s_andn2_saveexec_b32 s43, s43
	s_cbranch_execnz .LBB42_24
.LBB42_20:                              ;   in Loop: Header=BB42_8 Depth=2
	s_or_b32 exec_lo, exec_lo, s43
	v_cmp_class_f64_e64 s44, v[19:20], 0x1f8
	s_and_saveexec_b32 s43, s44
	s_cbranch_execz .LBB42_7
	s_branch .LBB42_25
.LBB42_21:                              ;   in Loop: Header=BB42_8 Depth=2
	v_mov_b32_e32 v19, 0
	v_mov_b32_e32 v20, 0
	s_mov_b32 s44, exec_lo
	v_cmpx_neq_f64_e32 0, v[9:10]
	s_cbranch_execz .LBB42_23
; %bb.22:                               ;   in Loop: Header=BB42_8 Depth=2
	v_div_scale_f64 v[19:20], null, v[17:18], v[17:18], v[15:16]
	v_div_scale_f64 v[31:32], vcc_lo, v[15:16], v[17:18], v[15:16]
	v_rcp_f64_e32 v[27:28], v[19:20]
	v_fma_f64 v[29:30], -v[19:20], v[27:28], 1.0
	v_fma_f64 v[27:28], v[27:28], v[29:30], v[27:28]
	v_fma_f64 v[29:30], -v[19:20], v[27:28], 1.0
	v_fma_f64 v[27:28], v[27:28], v[29:30], v[27:28]
	v_mul_f64 v[29:30], v[31:32], v[27:28]
	v_fma_f64 v[19:20], -v[19:20], v[29:30], v[31:32]
	v_div_fmas_f64 v[19:20], v[19:20], v[27:28], v[29:30]
	v_div_fixup_f64 v[15:16], v[19:20], v[17:18], v[15:16]
	v_fma_f64 v[15:16], v[15:16], v[15:16], 1.0
	v_cmp_gt_f64_e32 vcc_lo, 0x10000000, v[15:16]
	v_cndmask_b32_e64 v6, 0, 0x100, vcc_lo
	v_ldexp_f64 v[15:16], v[15:16], v6
	v_cndmask_b32_e64 v6, 0, 0xffffff80, vcc_lo
	v_rsq_f64_e32 v[19:20], v[15:16]
	v_cmp_class_f64_e64 vcc_lo, v[15:16], 0x260
	v_mul_f64 v[27:28], v[15:16], v[19:20]
	v_mul_f64 v[19:20], v[19:20], 0.5
	v_fma_f64 v[29:30], -v[19:20], v[27:28], 0.5
	v_fma_f64 v[27:28], v[27:28], v[29:30], v[27:28]
	v_fma_f64 v[19:20], v[19:20], v[29:30], v[19:20]
	v_fma_f64 v[29:30], -v[27:28], v[27:28], v[15:16]
	v_fma_f64 v[27:28], v[29:30], v[19:20], v[27:28]
	v_fma_f64 v[29:30], -v[27:28], v[27:28], v[15:16]
	v_fma_f64 v[19:20], v[29:30], v[19:20], v[27:28]
	v_ldexp_f64 v[19:20], v[19:20], v6
	v_cndmask_b32_e32 v16, v20, v16, vcc_lo
	v_cndmask_b32_e32 v15, v19, v15, vcc_lo
	v_mul_f64 v[19:20], v[17:18], v[15:16]
.LBB42_23:                              ;   in Loop: Header=BB42_8 Depth=2
	s_or_b32 exec_lo, exec_lo, s44
                                        ; implicit-def: $vgpr15_vgpr16
                                        ; implicit-def: $vgpr17_vgpr18
	s_andn2_saveexec_b32 s43, s43
	s_cbranch_execz .LBB42_20
.LBB42_24:                              ;   in Loop: Header=BB42_8 Depth=2
	v_div_scale_f64 v[19:20], null, v[15:16], v[15:16], v[17:18]
	v_div_scale_f64 v[31:32], vcc_lo, v[17:18], v[15:16], v[17:18]
	v_rcp_f64_e32 v[27:28], v[19:20]
	v_fma_f64 v[29:30], -v[19:20], v[27:28], 1.0
	v_fma_f64 v[27:28], v[27:28], v[29:30], v[27:28]
	v_fma_f64 v[29:30], -v[19:20], v[27:28], 1.0
	v_fma_f64 v[27:28], v[27:28], v[29:30], v[27:28]
	v_mul_f64 v[29:30], v[31:32], v[27:28]
	v_fma_f64 v[19:20], -v[19:20], v[29:30], v[31:32]
	v_div_fmas_f64 v[19:20], v[19:20], v[27:28], v[29:30]
	v_div_fixup_f64 v[17:18], v[19:20], v[15:16], v[17:18]
	v_fma_f64 v[17:18], v[17:18], v[17:18], 1.0
	v_cmp_gt_f64_e32 vcc_lo, 0x10000000, v[17:18]
	v_cndmask_b32_e64 v6, 0, 0x100, vcc_lo
	v_ldexp_f64 v[17:18], v[17:18], v6
	v_cndmask_b32_e64 v6, 0, 0xffffff80, vcc_lo
	v_rsq_f64_e32 v[19:20], v[17:18]
	v_cmp_class_f64_e64 vcc_lo, v[17:18], 0x260
	v_mul_f64 v[27:28], v[17:18], v[19:20]
	v_mul_f64 v[19:20], v[19:20], 0.5
	v_fma_f64 v[29:30], -v[19:20], v[27:28], 0.5
	v_fma_f64 v[27:28], v[27:28], v[29:30], v[27:28]
	v_fma_f64 v[19:20], v[19:20], v[29:30], v[19:20]
	v_fma_f64 v[29:30], -v[27:28], v[27:28], v[17:18]
	v_fma_f64 v[27:28], v[29:30], v[19:20], v[27:28]
	v_fma_f64 v[29:30], -v[27:28], v[27:28], v[17:18]
	v_fma_f64 v[19:20], v[29:30], v[19:20], v[27:28]
	v_ldexp_f64 v[19:20], v[19:20], v6
	v_cndmask_b32_e32 v18, v20, v18, vcc_lo
	v_cndmask_b32_e32 v17, v19, v17, vcc_lo
	v_mul_f64 v[19:20], v[15:16], v[17:18]
	s_or_b32 exec_lo, exec_lo, s43
	v_cmp_class_f64_e64 s44, v[19:20], 0x1f8
	s_and_saveexec_b32 s43, s44
	s_cbranch_execz .LBB42_7
.LBB42_25:                              ;   in Loop: Header=BB42_8 Depth=2
	s_mov_b32 s44, 0
                                        ; implicit-def: $vgpr15_vgpr16
	s_and_saveexec_b32 s45, s1
	s_xor_b32 s1, exec_lo, s45
	s_cbranch_execnz .LBB42_28
; %bb.26:                               ;   in Loop: Header=BB42_8 Depth=2
	s_andn2_saveexec_b32 s1, s1
	s_cbranch_execnz .LBB42_41
.LBB42_27:                              ;   in Loop: Header=BB42_8 Depth=2
	s_or_b32 exec_lo, exec_lo, s1
	s_and_b32 exec_lo, exec_lo, s44
	s_cbranch_execz .LBB42_7
	s_branch .LBB42_50
.LBB42_28:                              ;   in Loop: Header=BB42_8 Depth=2
	s_mov_b32 s45, exec_lo
                                        ; implicit-def: $vgpr15_vgpr16
	v_cmpx_ge_i32_e64 v0, v7
	s_xor_b32 s45, exec_lo, s45
	s_cbranch_execz .LBB42_30
; %bb.29:                               ;   in Loop: Header=BB42_8 Depth=2
	v_lshlrev_b64 v[6:7], 4, v[7:8]
	s_mov_b32 s44, exec_lo
                                        ; implicit-def: $vgpr12
                                        ; implicit-def: $vgpr26
                                        ; implicit-def: $vgpr11
	v_add_co_u32 v15, vcc_lo, s38, v6
	v_add_co_ci_u32_e64 v16, null, s39, v7, vcc_lo
	global_store_dwordx2 v[15:16], v[13:14], off
                                        ; implicit-def: $vgpr13_vgpr14
.LBB42_30:                              ;   in Loop: Header=BB42_8 Depth=2
	s_andn2_saveexec_b32 s45, s45
	s_cbranch_execz .LBB42_40
; %bb.31:                               ;   in Loop: Header=BB42_8 Depth=2
	s_mov_b32 s47, s44
	s_mov_b32 s46, exec_lo
                                        ; implicit-def: $vgpr15_vgpr16
	v_cmpx_lt_i32_e64 v12, v26
	s_cbranch_execz .LBB42_39
; %bb.32:                               ;   in Loop: Header=BB42_8 Depth=2
	s_mov_b32 s48, 0
                                        ; implicit-def: $sgpr47
                                        ; implicit-def: $sgpr50
                                        ; implicit-def: $sgpr49
	s_inst_prefetch 0x1
	s_branch .LBB42_34
	.p2align	6
.LBB42_33:                              ;   in Loop: Header=BB42_34 Depth=3
	s_or_b32 exec_lo, exec_lo, s51
	s_and_b32 s51, exec_lo, s50
	s_or_b32 s48, s51, s48
	s_andn2_b32 s47, s47, exec_lo
	s_and_b32 s51, s49, exec_lo
	s_or_b32 s47, s47, s51
	s_andn2_b32 exec_lo, exec_lo, s48
	s_cbranch_execz .LBB42_36
.LBB42_34:                              ;   Parent Loop BB42_4 Depth=1
                                        ;     Parent Loop BB42_8 Depth=2
                                        ; =>    This Inner Loop Header: Depth=3
	v_add_nc_u32_e32 v6, v11, v12
	s_or_b32 s49, s49, exec_lo
	s_or_b32 s50, s50, exec_lo
	s_mov_b32 s51, exec_lo
	v_ashrrev_i32_e32 v7, 31, v6
	v_lshlrev_b64 v[15:16], 2, v[6:7]
	v_add_co_u32 v15, vcc_lo, s12, v15
	v_add_co_ci_u32_e64 v16, null, s13, v16, vcc_lo
	global_load_dword v1, v[15:16], off
	s_waitcnt vmcnt(0)
	v_subrev_nc_u32_e32 v1, s4, v1
	v_cmpx_ne_u32_e64 v1, v0
	s_cbranch_execz .LBB42_33
; %bb.35:                               ;   in Loop: Header=BB42_34 Depth=3
	v_add_nc_u32_e32 v12, 1, v12
	s_andn2_b32 s50, s50, exec_lo
	s_andn2_b32 s49, s49, exec_lo
	v_cmp_ge_i32_e32 vcc_lo, v12, v26
	s_and_b32 s52, vcc_lo, exec_lo
	s_or_b32 s50, s50, s52
	s_branch .LBB42_33
.LBB42_36:                              ;   in Loop: Header=BB42_8 Depth=2
	s_inst_prefetch 0x2
	s_or_b32 exec_lo, exec_lo, s48
	s_mov_b32 s48, s44
                                        ; implicit-def: $vgpr15_vgpr16
	s_and_saveexec_b32 s49, s47
	s_xor_b32 s47, exec_lo, s49
	s_cbranch_execz .LBB42_38
; %bb.37:                               ;   in Loop: Header=BB42_8 Depth=2
	v_lshlrev_b64 v[6:7], 4, v[6:7]
	s_or_b32 s48, s44, exec_lo
	v_add_co_u32 v15, vcc_lo, s6, v6
	v_add_co_ci_u32_e64 v16, null, s7, v7, vcc_lo
	global_store_dwordx2 v[15:16], v[13:14], off
.LBB42_38:                              ;   in Loop: Header=BB42_8 Depth=2
	s_or_b32 exec_lo, exec_lo, s47
	s_andn2_b32 s47, s44, exec_lo
	s_and_b32 s48, s48, exec_lo
	s_or_b32 s47, s47, s48
.LBB42_39:                              ;   in Loop: Header=BB42_8 Depth=2
	s_or_b32 exec_lo, exec_lo, s46
	s_andn2_b32 s44, s44, exec_lo
	s_and_b32 s46, s47, exec_lo
	s_or_b32 s44, s44, s46
.LBB42_40:                              ;   in Loop: Header=BB42_8 Depth=2
	s_or_b32 exec_lo, exec_lo, s45
	s_and_b32 s44, s44, exec_lo
                                        ; implicit-def: $vgpr13_vgpr14
                                        ; implicit-def: $vgpr7_vgpr8
	s_andn2_saveexec_b32 s1, s1
	s_cbranch_execz .LBB42_27
.LBB42_41:                              ;   in Loop: Header=BB42_8 Depth=2
	s_mov_b32 s46, s44
	s_mov_b32 s45, exec_lo
                                        ; implicit-def: $vgpr15_vgpr16
	v_cmpx_lt_i32_e64 v1, v22
	s_cbranch_execz .LBB42_49
; %bb.42:                               ;   in Loop: Header=BB42_8 Depth=2
	s_mov_b32 s47, 0
                                        ; implicit-def: $sgpr46
                                        ; implicit-def: $sgpr49
                                        ; implicit-def: $sgpr48
	s_inst_prefetch 0x1
	s_branch .LBB42_44
	.p2align	6
.LBB42_43:                              ;   in Loop: Header=BB42_44 Depth=3
	s_or_b32 exec_lo, exec_lo, s50
	s_and_b32 s50, exec_lo, s49
	s_or_b32 s47, s50, s47
	s_andn2_b32 s46, s46, exec_lo
	s_and_b32 s50, s48, exec_lo
	s_or_b32 s46, s46, s50
	s_andn2_b32 exec_lo, exec_lo, s47
	s_cbranch_execz .LBB42_46
.LBB42_44:                              ;   Parent Loop BB42_4 Depth=1
                                        ;     Parent Loop BB42_8 Depth=2
                                        ; =>    This Inner Loop Header: Depth=3
	v_add_nc_u32_e32 v11, v3, v1
	s_or_b32 s48, s48, exec_lo
	s_or_b32 s49, s49, exec_lo
	s_mov_b32 s50, exec_lo
	v_ashrrev_i32_e32 v12, 31, v11
	v_lshlrev_b64 v[15:16], 2, v[11:12]
	v_add_co_u32 v15, vcc_lo, s20, v15
	v_add_co_ci_u32_e64 v16, null, s21, v16, vcc_lo
	global_load_dword v6, v[15:16], off
	s_waitcnt vmcnt(0)
	v_subrev_nc_u32_e32 v6, s40, v6
	v_cmpx_ne_u32_e64 v6, v7
	s_cbranch_execz .LBB42_43
; %bb.45:                               ;   in Loop: Header=BB42_44 Depth=3
	v_add_nc_u32_e32 v1, 1, v1
	s_andn2_b32 s49, s49, exec_lo
	s_andn2_b32 s48, s48, exec_lo
	v_cmp_ge_i32_e32 vcc_lo, v1, v22
	s_and_b32 s51, vcc_lo, exec_lo
	s_or_b32 s49, s49, s51
	s_branch .LBB42_43
.LBB42_46:                              ;   in Loop: Header=BB42_8 Depth=2
	s_inst_prefetch 0x2
	s_or_b32 exec_lo, exec_lo, s47
	s_mov_b32 s47, s44
                                        ; implicit-def: $vgpr15_vgpr16
	s_and_saveexec_b32 s48, s46
	s_xor_b32 s46, exec_lo, s48
	s_cbranch_execz .LBB42_48
; %bb.47:                               ;   in Loop: Header=BB42_8 Depth=2
	v_lshlrev_b64 v[6:7], 4, v[11:12]
	s_or_b32 s47, s44, exec_lo
	v_add_co_u32 v15, vcc_lo, s2, v6
	v_add_co_ci_u32_e64 v16, null, s3, v7, vcc_lo
	global_store_dwordx2 v[15:16], v[13:14], off
.LBB42_48:                              ;   in Loop: Header=BB42_8 Depth=2
	s_or_b32 exec_lo, exec_lo, s46
	s_andn2_b32 s46, s44, exec_lo
	s_and_b32 s47, s47, exec_lo
	s_or_b32 s46, s46, s47
.LBB42_49:                              ;   in Loop: Header=BB42_8 Depth=2
	s_or_b32 exec_lo, exec_lo, s45
	s_andn2_b32 s44, s44, exec_lo
	s_and_b32 s45, s46, exec_lo
	s_or_b32 s44, s44, s45
	s_or_b32 exec_lo, exec_lo, s1
	s_and_b32 exec_lo, exec_lo, s44
	s_cbranch_execz .LBB42_7
.LBB42_50:                              ;   in Loop: Header=BB42_8 Depth=2
	global_store_dwordx2 v[15:16], v[9:10], off offset:8
	s_branch .LBB42_7
.LBB42_51:
	s_endpgm
	.section	.rodata,"a",@progbits
	.p2align	6, 0x0
	.amdhsa_kernel _ZN9rocsparseL17kernel_correctionILi1024ELi1E21rocsparse_complex_numIdEiiEEvT3_T2_PKS4_S6_PKS3_PKT1_21rocsparse_index_base_S6_S6_S8_SB_PS9_SC_S6_S6_S8_SB_SD_SC_SB_SD_
		.amdhsa_group_segment_fixed_size 0
		.amdhsa_private_segment_fixed_size 0
		.amdhsa_kernarg_size 160
		.amdhsa_user_sgpr_count 6
		.amdhsa_user_sgpr_private_segment_buffer 1
		.amdhsa_user_sgpr_dispatch_ptr 0
		.amdhsa_user_sgpr_queue_ptr 0
		.amdhsa_user_sgpr_kernarg_segment_ptr 1
		.amdhsa_user_sgpr_dispatch_id 0
		.amdhsa_user_sgpr_flat_scratch_init 0
		.amdhsa_user_sgpr_private_segment_size 0
		.amdhsa_wavefront_size32 1
		.amdhsa_uses_dynamic_stack 0
		.amdhsa_system_sgpr_private_segment_wavefront_offset 0
		.amdhsa_system_sgpr_workgroup_id_x 1
		.amdhsa_system_sgpr_workgroup_id_y 0
		.amdhsa_system_sgpr_workgroup_id_z 0
		.amdhsa_system_sgpr_workgroup_info 0
		.amdhsa_system_vgpr_workitem_id 0
		.amdhsa_next_free_vgpr 36
		.amdhsa_next_free_sgpr 53
		.amdhsa_reserve_vcc 1
		.amdhsa_reserve_flat_scratch 0
		.amdhsa_float_round_mode_32 0
		.amdhsa_float_round_mode_16_64 0
		.amdhsa_float_denorm_mode_32 3
		.amdhsa_float_denorm_mode_16_64 3
		.amdhsa_dx10_clamp 1
		.amdhsa_ieee_mode 1
		.amdhsa_fp16_overflow 0
		.amdhsa_workgroup_processor_mode 1
		.amdhsa_memory_ordered 1
		.amdhsa_forward_progress 1
		.amdhsa_shared_vgpr_count 0
		.amdhsa_exception_fp_ieee_invalid_op 0
		.amdhsa_exception_fp_denorm_src 0
		.amdhsa_exception_fp_ieee_div_zero 0
		.amdhsa_exception_fp_ieee_overflow 0
		.amdhsa_exception_fp_ieee_underflow 0
		.amdhsa_exception_fp_ieee_inexact 0
		.amdhsa_exception_int_div_zero 0
	.end_amdhsa_kernel
	.section	.text._ZN9rocsparseL17kernel_correctionILi1024ELi1E21rocsparse_complex_numIdEiiEEvT3_T2_PKS4_S6_PKS3_PKT1_21rocsparse_index_base_S6_S6_S8_SB_PS9_SC_S6_S6_S8_SB_SD_SC_SB_SD_,"axG",@progbits,_ZN9rocsparseL17kernel_correctionILi1024ELi1E21rocsparse_complex_numIdEiiEEvT3_T2_PKS4_S6_PKS3_PKT1_21rocsparse_index_base_S6_S6_S8_SB_PS9_SC_S6_S6_S8_SB_SD_SC_SB_SD_,comdat
.Lfunc_end42:
	.size	_ZN9rocsparseL17kernel_correctionILi1024ELi1E21rocsparse_complex_numIdEiiEEvT3_T2_PKS4_S6_PKS3_PKT1_21rocsparse_index_base_S6_S6_S8_SB_PS9_SC_S6_S6_S8_SB_SD_SC_SB_SD_, .Lfunc_end42-_ZN9rocsparseL17kernel_correctionILi1024ELi1E21rocsparse_complex_numIdEiiEEvT3_T2_PKS4_S6_PKS3_PKT1_21rocsparse_index_base_S6_S6_S8_SB_PS9_SC_S6_S6_S8_SB_SD_SC_SB_SD_
                                        ; -- End function
	.set _ZN9rocsparseL17kernel_correctionILi1024ELi1E21rocsparse_complex_numIdEiiEEvT3_T2_PKS4_S6_PKS3_PKT1_21rocsparse_index_base_S6_S6_S8_SB_PS9_SC_S6_S6_S8_SB_SD_SC_SB_SD_.num_vgpr, 36
	.set _ZN9rocsparseL17kernel_correctionILi1024ELi1E21rocsparse_complex_numIdEiiEEvT3_T2_PKS4_S6_PKS3_PKT1_21rocsparse_index_base_S6_S6_S8_SB_PS9_SC_S6_S6_S8_SB_SD_SC_SB_SD_.num_agpr, 0
	.set _ZN9rocsparseL17kernel_correctionILi1024ELi1E21rocsparse_complex_numIdEiiEEvT3_T2_PKS4_S6_PKS3_PKT1_21rocsparse_index_base_S6_S6_S8_SB_PS9_SC_S6_S6_S8_SB_SD_SC_SB_SD_.numbered_sgpr, 53
	.set _ZN9rocsparseL17kernel_correctionILi1024ELi1E21rocsparse_complex_numIdEiiEEvT3_T2_PKS4_S6_PKS3_PKT1_21rocsparse_index_base_S6_S6_S8_SB_PS9_SC_S6_S6_S8_SB_SD_SC_SB_SD_.num_named_barrier, 0
	.set _ZN9rocsparseL17kernel_correctionILi1024ELi1E21rocsparse_complex_numIdEiiEEvT3_T2_PKS4_S6_PKS3_PKT1_21rocsparse_index_base_S6_S6_S8_SB_PS9_SC_S6_S6_S8_SB_SD_SC_SB_SD_.private_seg_size, 0
	.set _ZN9rocsparseL17kernel_correctionILi1024ELi1E21rocsparse_complex_numIdEiiEEvT3_T2_PKS4_S6_PKS3_PKT1_21rocsparse_index_base_S6_S6_S8_SB_PS9_SC_S6_S6_S8_SB_SD_SC_SB_SD_.uses_vcc, 1
	.set _ZN9rocsparseL17kernel_correctionILi1024ELi1E21rocsparse_complex_numIdEiiEEvT3_T2_PKS4_S6_PKS3_PKT1_21rocsparse_index_base_S6_S6_S8_SB_PS9_SC_S6_S6_S8_SB_SD_SC_SB_SD_.uses_flat_scratch, 0
	.set _ZN9rocsparseL17kernel_correctionILi1024ELi1E21rocsparse_complex_numIdEiiEEvT3_T2_PKS4_S6_PKS3_PKT1_21rocsparse_index_base_S6_S6_S8_SB_PS9_SC_S6_S6_S8_SB_SD_SC_SB_SD_.has_dyn_sized_stack, 0
	.set _ZN9rocsparseL17kernel_correctionILi1024ELi1E21rocsparse_complex_numIdEiiEEvT3_T2_PKS4_S6_PKS3_PKT1_21rocsparse_index_base_S6_S6_S8_SB_PS9_SC_S6_S6_S8_SB_SD_SC_SB_SD_.has_recursion, 0
	.set _ZN9rocsparseL17kernel_correctionILi1024ELi1E21rocsparse_complex_numIdEiiEEvT3_T2_PKS4_S6_PKS3_PKT1_21rocsparse_index_base_S6_S6_S8_SB_PS9_SC_S6_S6_S8_SB_SD_SC_SB_SD_.has_indirect_call, 0
	.section	.AMDGPU.csdata,"",@progbits
; Kernel info:
; codeLenInByte = 2620
; TotalNumSgprs: 55
; NumVgprs: 36
; ScratchSize: 0
; MemoryBound: 1
; FloatMode: 240
; IeeeMode: 1
; LDSByteSize: 0 bytes/workgroup (compile time only)
; SGPRBlocks: 0
; VGPRBlocks: 4
; NumSGPRsForWavesPerEU: 55
; NumVGPRsForWavesPerEU: 36
; Occupancy: 16
; WaveLimiterHint : 1
; COMPUTE_PGM_RSRC2:SCRATCH_EN: 0
; COMPUTE_PGM_RSRC2:USER_SGPR: 6
; COMPUTE_PGM_RSRC2:TRAP_HANDLER: 0
; COMPUTE_PGM_RSRC2:TGID_X_EN: 1
; COMPUTE_PGM_RSRC2:TGID_Y_EN: 0
; COMPUTE_PGM_RSRC2:TGID_Z_EN: 0
; COMPUTE_PGM_RSRC2:TIDIG_COMP_CNT: 0
	.section	.text._ZN9rocsparseL17kernel_correctionILi1024ELi2E21rocsparse_complex_numIdEiiEEvT3_T2_PKS4_S6_PKS3_PKT1_21rocsparse_index_base_S6_S6_S8_SB_PS9_SC_S6_S6_S8_SB_SD_SC_SB_SD_,"axG",@progbits,_ZN9rocsparseL17kernel_correctionILi1024ELi2E21rocsparse_complex_numIdEiiEEvT3_T2_PKS4_S6_PKS3_PKT1_21rocsparse_index_base_S6_S6_S8_SB_PS9_SC_S6_S6_S8_SB_SD_SC_SB_SD_,comdat
	.globl	_ZN9rocsparseL17kernel_correctionILi1024ELi2E21rocsparse_complex_numIdEiiEEvT3_T2_PKS4_S6_PKS3_PKT1_21rocsparse_index_base_S6_S6_S8_SB_PS9_SC_S6_S6_S8_SB_SD_SC_SB_SD_ ; -- Begin function _ZN9rocsparseL17kernel_correctionILi1024ELi2E21rocsparse_complex_numIdEiiEEvT3_T2_PKS4_S6_PKS3_PKT1_21rocsparse_index_base_S6_S6_S8_SB_PS9_SC_S6_S6_S8_SB_SD_SC_SB_SD_
	.p2align	8
	.type	_ZN9rocsparseL17kernel_correctionILi1024ELi2E21rocsparse_complex_numIdEiiEEvT3_T2_PKS4_S6_PKS3_PKT1_21rocsparse_index_base_S6_S6_S8_SB_PS9_SC_S6_S6_S8_SB_SD_SC_SB_SD_,@function
_ZN9rocsparseL17kernel_correctionILi1024ELi2E21rocsparse_complex_numIdEiiEEvT3_T2_PKS4_S6_PKS3_PKT1_21rocsparse_index_base_S6_S6_S8_SB_PS9_SC_S6_S6_S8_SB_SD_SC_SB_SD_: ; @_ZN9rocsparseL17kernel_correctionILi1024ELi2E21rocsparse_complex_numIdEiiEEvT3_T2_PKS4_S6_PKS3_PKT1_21rocsparse_index_base_S6_S6_S8_SB_PS9_SC_S6_S6_S8_SB_SD_SC_SB_SD_
; %bb.0:
	s_load_dword s33, s[4:5], 0x0
	v_lshrrev_b32_e32 v1, 1, v0
	s_lshl_b32 s34, s6, 10
	s_mov_b32 s0, exec_lo
	v_or_b32_e32 v1, s34, v1
	s_waitcnt lgkmcnt(0)
	v_cmpx_gt_i32_e64 s33, v1
	s_cbranch_execz .LBB43_51
; %bb.1:
	s_addk_i32 s34, 0x400
	v_cmp_gt_u32_e32 vcc_lo, s34, v1
	s_and_b32 exec_lo, exec_lo, vcc_lo
	s_cbranch_execz .LBB43_51
; %bb.2:
	s_clause 0x8
	s_load_dwordx4 s[36:39], s[4:5], 0x90
	s_load_dwordx8 s[8:15], s[4:5], 0x60
	s_load_dword s35, s[4:5], 0x28
	s_load_dwordx8 s[16:23], s[4:5], 0x30
	s_load_dwordx8 s[24:31], s[4:5], 0x8
	s_load_dwordx2 s[2:3], s[4:5], 0x50
	s_load_dword s40, s[4:5], 0x58
	s_load_dwordx2 s[6:7], s[4:5], 0x80
	s_load_dword s4, s[4:5], 0x88
	v_and_b32_e32 v0, 1, v0
	v_mov_b32_e32 v3, 0
	s_mov_b32 s5, 0
	s_waitcnt lgkmcnt(0)
	v_subrev_nc_u32_e32 v0, s35, v0
	s_branch .LBB43_4
.LBB43_3:                               ;   in Loop: Header=BB43_4 Depth=1
	s_or_b32 exec_lo, exec_lo, s41
	v_add_nc_u32_e32 v1, 0x200, v1
	v_cmp_le_u32_e32 vcc_lo, s34, v1
	s_or_b32 s5, vcc_lo, s5
	s_andn2_b32 exec_lo, exec_lo, s5
	s_cbranch_execz .LBB43_51
.LBB43_4:                               ; =>This Loop Header: Depth=1
                                        ;     Child Loop BB43_8 Depth 2
                                        ;       Child Loop BB43_12 Depth 3
                                        ;       Child Loop BB43_34 Depth 3
	;; [unrolled: 1-line block ×3, first 2 shown]
	s_mov_b32 s41, exec_lo
	v_cmpx_gt_i32_e64 s33, v1
	s_cbranch_execz .LBB43_3
; %bb.5:                                ;   in Loop: Header=BB43_4 Depth=1
	v_ashrrev_i32_e32 v2, 31, v1
	v_lshlrev_b64 v[5:6], 2, v[1:2]
	v_add_co_u32 v7, vcc_lo, s24, v5
	v_add_co_ci_u32_e64 v8, null, s25, v6, vcc_lo
	v_add_co_u32 v9, vcc_lo, s26, v5
	v_add_co_ci_u32_e64 v10, null, s27, v6, vcc_lo
	global_load_dword v2, v[7:8], off
	global_load_dword v7, v[9:10], off
	s_waitcnt vmcnt(1)
	v_add_nc_u32_e32 v4, v0, v2
	s_waitcnt vmcnt(0)
	v_subrev_nc_u32_e32 v21, s35, v7
	v_cmp_lt_i32_e32 vcc_lo, v4, v21
	s_and_b32 exec_lo, exec_lo, vcc_lo
	s_cbranch_execz .LBB43_3
; %bb.6:                                ;   in Loop: Header=BB43_4 Depth=1
	v_add_co_u32 v7, vcc_lo, s16, v5
	v_add_co_ci_u32_e64 v8, null, s17, v6, vcc_lo
	v_add_co_u32 v5, vcc_lo, s18, v5
	v_add_co_ci_u32_e64 v6, null, s19, v6, vcc_lo
	global_load_dword v2, v[7:8], off
	s_mov_b32 s42, 0
	global_load_dword v5, v[5:6], off
	s_waitcnt vmcnt(1)
	v_subrev_nc_u32_e32 v6, s40, v2
	s_waitcnt vmcnt(0)
	v_sub_nc_u32_e32 v22, v5, v2
	v_ashrrev_i32_e32 v7, 31, v6
	v_cmp_lt_i32_e64 s0, 0, v22
	v_lshlrev_b64 v[8:9], 2, v[6:7]
	v_lshlrev_b64 v[10:11], 4, v[6:7]
	v_add_co_u32 v23, vcc_lo, s20, v8
	v_add_co_ci_u32_e64 v24, null, s21, v9, vcc_lo
	v_add_co_u32 v25, vcc_lo, s22, v10
	v_add_co_ci_u32_e64 v26, null, s23, v11, vcc_lo
	s_branch .LBB43_8
.LBB43_7:                               ;   in Loop: Header=BB43_8 Depth=2
	s_or_b32 exec_lo, exec_lo, s43
	v_add_nc_u32_e32 v4, 2, v4
	v_cmp_ge_i32_e32 vcc_lo, v4, v21
	s_or_b32 s42, vcc_lo, s42
	s_andn2_b32 exec_lo, exec_lo, s42
	s_cbranch_execz .LBB43_3
.LBB43_8:                               ;   Parent Loop BB43_4 Depth=1
                                        ; =>  This Loop Header: Depth=2
                                        ;       Child Loop BB43_12 Depth 3
                                        ;       Child Loop BB43_34 Depth 3
	;; [unrolled: 1-line block ×3, first 2 shown]
	v_ashrrev_i32_e32 v5, 31, v4
	v_mov_b32_e32 v15, 0
	v_mov_b32_e32 v16, 0
	v_lshlrev_b64 v[7:8], 2, v[4:5]
	v_add_co_u32 v7, vcc_lo, s28, v7
	v_add_co_ci_u32_e64 v8, null, s29, v8, vcc_lo
	global_load_dword v2, v[7:8], off
	s_waitcnt vmcnt(0)
	v_subrev_nc_u32_e32 v7, s35, v2
	v_mov_b32_e32 v2, 0
	v_ashrrev_i32_e32 v8, 31, v7
	v_lshlrev_b64 v[9:10], 2, v[7:8]
	v_add_co_u32 v11, vcc_lo, s8, v9
	v_add_co_ci_u32_e64 v12, null, s9, v10, vcc_lo
	v_add_co_u32 v9, vcc_lo, s10, v9
	v_add_co_ci_u32_e64 v10, null, s11, v10, vcc_lo
	global_load_dword v12, v[11:12], off
	global_load_dword v13, v[9:10], off
	v_mov_b32_e32 v9, 0
	v_mov_b32_e32 v10, 0
	s_waitcnt vmcnt(1)
	v_subrev_nc_u32_e32 v11, s4, v12
	s_waitcnt vmcnt(0)
	v_sub_nc_u32_e32 v27, v13, v12
	v_mov_b32_e32 v12, v2
	s_and_saveexec_b32 s43, s0
	s_cbranch_execz .LBB43_16
; %bb.9:                                ;   in Loop: Header=BB43_8 Depth=2
	v_ashrrev_i32_e32 v12, 31, v11
	v_mov_b32_e32 v9, 0
	v_mov_b32_e32 v10, 0
	;; [unrolled: 1-line block ×3, first 2 shown]
	s_mov_b32 s44, 0
	v_lshlrev_b64 v[14:15], 2, v[11:12]
	v_lshlrev_b64 v[12:13], 4, v[11:12]
                                        ; implicit-def: $sgpr45
	v_add_co_u32 v14, vcc_lo, s12, v14
	v_add_co_ci_u32_e64 v17, null, s13, v15, vcc_lo
	v_add_co_u32 v18, vcc_lo, s14, v12
	v_mov_b32_e32 v15, 0
	v_add_co_ci_u32_e64 v19, null, s15, v13, vcc_lo
	v_mov_b32_e32 v12, 0
	v_mov_b32_e32 v16, 0
	s_branch .LBB43_12
.LBB43_10:                              ;   in Loop: Header=BB43_12 Depth=3
	s_or_b32 exec_lo, exec_lo, s1
	v_cmp_le_i32_e32 vcc_lo, v20, v28
	v_cmp_ge_i32_e64 s1, v20, v28
	v_add_co_ci_u32_e64 v2, null, 0, v2, vcc_lo
	v_add_co_ci_u32_e64 v12, null, 0, v12, s1
	s_andn2_b32 s1, s45, exec_lo
	v_cmp_ge_i32_e32 vcc_lo, v2, v22
	s_and_b32 s45, vcc_lo, exec_lo
	s_or_b32 s45, s1, s45
.LBB43_11:                              ;   in Loop: Header=BB43_12 Depth=3
	s_or_b32 exec_lo, exec_lo, s46
	s_and_b32 s1, exec_lo, s45
	s_or_b32 s44, s1, s44
	s_andn2_b32 exec_lo, exec_lo, s44
	s_cbranch_execz .LBB43_15
.LBB43_12:                              ;   Parent Loop BB43_4 Depth=1
                                        ;     Parent Loop BB43_8 Depth=2
                                        ; =>    This Inner Loop Header: Depth=3
	s_or_b32 s45, s45, exec_lo
	s_mov_b32 s46, exec_lo
	v_cmpx_lt_i32_e64 v12, v27
	s_cbranch_execz .LBB43_11
; %bb.13:                               ;   in Loop: Header=BB43_12 Depth=3
	v_mov_b32_e32 v13, v3
	v_lshlrev_b64 v[28:29], 2, v[2:3]
	s_mov_b32 s1, exec_lo
	v_lshlrev_b64 v[30:31], 2, v[12:13]
	v_add_co_u32 v28, vcc_lo, v23, v28
	v_add_co_ci_u32_e64 v29, null, v24, v29, vcc_lo
	v_add_co_u32 v30, vcc_lo, v14, v30
	v_add_co_ci_u32_e64 v31, null, v17, v31, vcc_lo
	global_load_dword v20, v[28:29], off
	global_load_dword v28, v[30:31], off
	s_waitcnt vmcnt(1)
	v_subrev_nc_u32_e32 v20, s40, v20
	s_waitcnt vmcnt(0)
	v_subrev_nc_u32_e32 v28, s4, v28
	v_cmpx_eq_u32_e64 v20, v28
	s_cbranch_execz .LBB43_10
; %bb.14:                               ;   in Loop: Header=BB43_12 Depth=3
	v_lshlrev_b64 v[29:30], 4, v[2:3]
	v_lshlrev_b64 v[31:32], 4, v[12:13]
	v_add_co_u32 v29, vcc_lo, v25, v29
	v_add_co_ci_u32_e64 v30, null, v26, v30, vcc_lo
	v_add_co_u32 v33, vcc_lo, v18, v31
	v_add_co_ci_u32_e64 v34, null, v19, v32, vcc_lo
	global_load_dwordx4 v[29:32], v[29:30], off
	global_load_dwordx4 v[33:36], v[33:34], off
	s_waitcnt vmcnt(0)
	v_fma_f64 v[9:10], v[29:30], v[33:34], v[9:10]
	v_fma_f64 v[15:16], v[31:32], v[33:34], v[15:16]
	v_fma_f64 v[9:10], -v[31:32], v[35:36], v[9:10]
	v_fma_f64 v[15:16], v[29:30], v[35:36], v[15:16]
	s_branch .LBB43_10
.LBB43_15:                              ;   in Loop: Header=BB43_8 Depth=2
	s_or_b32 exec_lo, exec_lo, s44
.LBB43_16:                              ;   in Loop: Header=BB43_8 Depth=2
	s_or_b32 exec_lo, exec_lo, s43
	v_lshlrev_b64 v[13:14], 4, v[4:5]
	v_cmp_le_i32_e64 s1, v1, v7
	s_mov_b32 s43, exec_lo
	v_add_co_u32 v13, vcc_lo, s30, v13
	v_add_co_ci_u32_e64 v14, null, s31, v14, vcc_lo
	global_load_dwordx4 v[17:20], v[13:14], off
	s_waitcnt vmcnt(0)
	v_add_f64 v[13:14], v[17:18], -v[9:10]
	v_add_f64 v[9:10], v[19:20], -v[15:16]
	v_cmpx_gt_i32_e64 v1, v7
	s_cbranch_execz .LBB43_18
; %bb.17:                               ;   in Loop: Header=BB43_8 Depth=2
	v_lshlrev_b64 v[15:16], 4, v[7:8]
	v_add_co_u32 v15, vcc_lo, s36, v15
	v_add_co_ci_u32_e64 v16, null, s37, v16, vcc_lo
	global_load_dwordx4 v[15:18], v[15:16], off
	s_waitcnt vmcnt(0)
	v_mul_f64 v[19:20], v[17:18], v[17:18]
	v_fma_f64 v[19:20], v[15:16], v[15:16], v[19:20]
	v_div_scale_f64 v[28:29], null, v[19:20], v[19:20], 1.0
	v_div_scale_f64 v[34:35], vcc_lo, 1.0, v[19:20], 1.0
	v_rcp_f64_e32 v[30:31], v[28:29]
	v_fma_f64 v[32:33], -v[28:29], v[30:31], 1.0
	v_fma_f64 v[30:31], v[30:31], v[32:33], v[30:31]
	v_fma_f64 v[32:33], -v[28:29], v[30:31], 1.0
	v_fma_f64 v[30:31], v[30:31], v[32:33], v[30:31]
	v_mul_f64 v[32:33], v[34:35], v[30:31]
	v_fma_f64 v[28:29], -v[28:29], v[32:33], v[34:35]
	v_div_fmas_f64 v[28:29], v[28:29], v[30:31], v[32:33]
	v_mul_f64 v[30:31], v[9:10], v[17:18]
	v_mul_f64 v[17:18], v[17:18], -v[13:14]
	v_div_fixup_f64 v[19:20], v[28:29], v[19:20], 1.0
	v_fma_f64 v[13:14], v[13:14], v[15:16], v[30:31]
	v_fma_f64 v[9:10], v[9:10], v[15:16], v[17:18]
	v_mul_f64 v[13:14], v[13:14], v[19:20]
	v_mul_f64 v[9:10], v[9:10], v[19:20]
.LBB43_18:                              ;   in Loop: Header=BB43_8 Depth=2
	s_or_b32 exec_lo, exec_lo, s43
	v_cmp_gt_f64_e32 vcc_lo, 0, v[13:14]
	v_xor_b32_e32 v5, 0x80000000, v14
	v_xor_b32_e32 v17, 0x80000000, v10
	v_mov_b32_e32 v15, v13
	s_mov_b32 s43, exec_lo
                                        ; implicit-def: $vgpr19_vgpr20
	v_cndmask_b32_e32 v16, v14, v5, vcc_lo
	v_cmp_gt_f64_e32 vcc_lo, 0, v[9:10]
	v_cndmask_b32_e32 v18, v10, v17, vcc_lo
	v_mov_b32_e32 v17, v9
	v_cmpx_ngt_f64_e32 v[15:16], v[17:18]
	s_xor_b32 s43, exec_lo, s43
	s_cbranch_execnz .LBB43_21
; %bb.19:                               ;   in Loop: Header=BB43_8 Depth=2
	s_andn2_saveexec_b32 s43, s43
	s_cbranch_execnz .LBB43_24
.LBB43_20:                              ;   in Loop: Header=BB43_8 Depth=2
	s_or_b32 exec_lo, exec_lo, s43
	v_cmp_class_f64_e64 s44, v[19:20], 0x1f8
	s_and_saveexec_b32 s43, s44
	s_cbranch_execz .LBB43_7
	s_branch .LBB43_25
.LBB43_21:                              ;   in Loop: Header=BB43_8 Depth=2
	v_mov_b32_e32 v19, 0
	v_mov_b32_e32 v20, 0
	s_mov_b32 s44, exec_lo
	v_cmpx_neq_f64_e32 0, v[9:10]
	s_cbranch_execz .LBB43_23
; %bb.22:                               ;   in Loop: Header=BB43_8 Depth=2
	v_div_scale_f64 v[19:20], null, v[17:18], v[17:18], v[15:16]
	v_div_scale_f64 v[32:33], vcc_lo, v[15:16], v[17:18], v[15:16]
	v_rcp_f64_e32 v[28:29], v[19:20]
	v_fma_f64 v[30:31], -v[19:20], v[28:29], 1.0
	v_fma_f64 v[28:29], v[28:29], v[30:31], v[28:29]
	v_fma_f64 v[30:31], -v[19:20], v[28:29], 1.0
	v_fma_f64 v[28:29], v[28:29], v[30:31], v[28:29]
	v_mul_f64 v[30:31], v[32:33], v[28:29]
	v_fma_f64 v[19:20], -v[19:20], v[30:31], v[32:33]
	v_div_fmas_f64 v[19:20], v[19:20], v[28:29], v[30:31]
	v_div_fixup_f64 v[15:16], v[19:20], v[17:18], v[15:16]
	v_fma_f64 v[15:16], v[15:16], v[15:16], 1.0
	v_cmp_gt_f64_e32 vcc_lo, 0x10000000, v[15:16]
	v_cndmask_b32_e64 v5, 0, 0x100, vcc_lo
	v_ldexp_f64 v[15:16], v[15:16], v5
	v_cndmask_b32_e64 v5, 0, 0xffffff80, vcc_lo
	v_rsq_f64_e32 v[19:20], v[15:16]
	v_cmp_class_f64_e64 vcc_lo, v[15:16], 0x260
	v_mul_f64 v[28:29], v[15:16], v[19:20]
	v_mul_f64 v[19:20], v[19:20], 0.5
	v_fma_f64 v[30:31], -v[19:20], v[28:29], 0.5
	v_fma_f64 v[28:29], v[28:29], v[30:31], v[28:29]
	v_fma_f64 v[19:20], v[19:20], v[30:31], v[19:20]
	v_fma_f64 v[30:31], -v[28:29], v[28:29], v[15:16]
	v_fma_f64 v[28:29], v[30:31], v[19:20], v[28:29]
	v_fma_f64 v[30:31], -v[28:29], v[28:29], v[15:16]
	v_fma_f64 v[19:20], v[30:31], v[19:20], v[28:29]
	v_ldexp_f64 v[19:20], v[19:20], v5
	v_cndmask_b32_e32 v16, v20, v16, vcc_lo
	v_cndmask_b32_e32 v15, v19, v15, vcc_lo
	v_mul_f64 v[19:20], v[17:18], v[15:16]
.LBB43_23:                              ;   in Loop: Header=BB43_8 Depth=2
	s_or_b32 exec_lo, exec_lo, s44
                                        ; implicit-def: $vgpr15_vgpr16
                                        ; implicit-def: $vgpr17_vgpr18
	s_andn2_saveexec_b32 s43, s43
	s_cbranch_execz .LBB43_20
.LBB43_24:                              ;   in Loop: Header=BB43_8 Depth=2
	v_div_scale_f64 v[19:20], null, v[15:16], v[15:16], v[17:18]
	v_div_scale_f64 v[32:33], vcc_lo, v[17:18], v[15:16], v[17:18]
	v_rcp_f64_e32 v[28:29], v[19:20]
	v_fma_f64 v[30:31], -v[19:20], v[28:29], 1.0
	v_fma_f64 v[28:29], v[28:29], v[30:31], v[28:29]
	v_fma_f64 v[30:31], -v[19:20], v[28:29], 1.0
	v_fma_f64 v[28:29], v[28:29], v[30:31], v[28:29]
	v_mul_f64 v[30:31], v[32:33], v[28:29]
	v_fma_f64 v[19:20], -v[19:20], v[30:31], v[32:33]
	v_div_fmas_f64 v[19:20], v[19:20], v[28:29], v[30:31]
	v_div_fixup_f64 v[17:18], v[19:20], v[15:16], v[17:18]
	v_fma_f64 v[17:18], v[17:18], v[17:18], 1.0
	v_cmp_gt_f64_e32 vcc_lo, 0x10000000, v[17:18]
	v_cndmask_b32_e64 v5, 0, 0x100, vcc_lo
	v_ldexp_f64 v[17:18], v[17:18], v5
	v_cndmask_b32_e64 v5, 0, 0xffffff80, vcc_lo
	v_rsq_f64_e32 v[19:20], v[17:18]
	v_cmp_class_f64_e64 vcc_lo, v[17:18], 0x260
	v_mul_f64 v[28:29], v[17:18], v[19:20]
	v_mul_f64 v[19:20], v[19:20], 0.5
	v_fma_f64 v[30:31], -v[19:20], v[28:29], 0.5
	v_fma_f64 v[28:29], v[28:29], v[30:31], v[28:29]
	v_fma_f64 v[19:20], v[19:20], v[30:31], v[19:20]
	v_fma_f64 v[30:31], -v[28:29], v[28:29], v[17:18]
	v_fma_f64 v[28:29], v[30:31], v[19:20], v[28:29]
	v_fma_f64 v[30:31], -v[28:29], v[28:29], v[17:18]
	v_fma_f64 v[19:20], v[30:31], v[19:20], v[28:29]
	v_ldexp_f64 v[19:20], v[19:20], v5
	v_cndmask_b32_e32 v18, v20, v18, vcc_lo
	v_cndmask_b32_e32 v17, v19, v17, vcc_lo
	v_mul_f64 v[19:20], v[15:16], v[17:18]
	s_or_b32 exec_lo, exec_lo, s43
	v_cmp_class_f64_e64 s44, v[19:20], 0x1f8
	s_and_saveexec_b32 s43, s44
	s_cbranch_execz .LBB43_7
.LBB43_25:                              ;   in Loop: Header=BB43_8 Depth=2
	s_mov_b32 s44, 0
                                        ; implicit-def: $vgpr15_vgpr16
	s_and_saveexec_b32 s45, s1
	s_xor_b32 s1, exec_lo, s45
	s_cbranch_execnz .LBB43_28
; %bb.26:                               ;   in Loop: Header=BB43_8 Depth=2
	s_andn2_saveexec_b32 s1, s1
	s_cbranch_execnz .LBB43_41
.LBB43_27:                              ;   in Loop: Header=BB43_8 Depth=2
	s_or_b32 exec_lo, exec_lo, s1
	s_and_b32 exec_lo, exec_lo, s44
	s_cbranch_execz .LBB43_7
	s_branch .LBB43_50
.LBB43_28:                              ;   in Loop: Header=BB43_8 Depth=2
	s_mov_b32 s45, exec_lo
                                        ; implicit-def: $vgpr15_vgpr16
	v_cmpx_ge_i32_e64 v1, v7
	s_xor_b32 s45, exec_lo, s45
	s_cbranch_execz .LBB43_30
; %bb.29:                               ;   in Loop: Header=BB43_8 Depth=2
	v_lshlrev_b64 v[7:8], 4, v[7:8]
	s_mov_b32 s44, exec_lo
                                        ; implicit-def: $vgpr12
                                        ; implicit-def: $vgpr27
                                        ; implicit-def: $vgpr11
	v_add_co_u32 v15, vcc_lo, s38, v7
	v_add_co_ci_u32_e64 v16, null, s39, v8, vcc_lo
	global_store_dwordx2 v[15:16], v[13:14], off
                                        ; implicit-def: $vgpr13_vgpr14
.LBB43_30:                              ;   in Loop: Header=BB43_8 Depth=2
	s_andn2_saveexec_b32 s45, s45
	s_cbranch_execz .LBB43_40
; %bb.31:                               ;   in Loop: Header=BB43_8 Depth=2
	s_mov_b32 s47, s44
	s_mov_b32 s46, exec_lo
                                        ; implicit-def: $vgpr15_vgpr16
	v_cmpx_lt_i32_e64 v12, v27
	s_cbranch_execz .LBB43_39
; %bb.32:                               ;   in Loop: Header=BB43_8 Depth=2
	s_mov_b32 s48, 0
                                        ; implicit-def: $sgpr47
                                        ; implicit-def: $sgpr50
                                        ; implicit-def: $sgpr49
	s_inst_prefetch 0x1
	s_branch .LBB43_34
	.p2align	6
.LBB43_33:                              ;   in Loop: Header=BB43_34 Depth=3
	s_or_b32 exec_lo, exec_lo, s51
	s_and_b32 s51, exec_lo, s50
	s_or_b32 s48, s51, s48
	s_andn2_b32 s47, s47, exec_lo
	s_and_b32 s51, s49, exec_lo
	s_or_b32 s47, s47, s51
	s_andn2_b32 exec_lo, exec_lo, s48
	s_cbranch_execz .LBB43_36
.LBB43_34:                              ;   Parent Loop BB43_4 Depth=1
                                        ;     Parent Loop BB43_8 Depth=2
                                        ; =>    This Inner Loop Header: Depth=3
	v_add_nc_u32_e32 v7, v11, v12
	s_or_b32 s49, s49, exec_lo
	s_or_b32 s50, s50, exec_lo
	s_mov_b32 s51, exec_lo
	v_ashrrev_i32_e32 v8, 31, v7
	v_lshlrev_b64 v[15:16], 2, v[7:8]
	v_add_co_u32 v15, vcc_lo, s12, v15
	v_add_co_ci_u32_e64 v16, null, s13, v16, vcc_lo
	global_load_dword v2, v[15:16], off
	s_waitcnt vmcnt(0)
	v_subrev_nc_u32_e32 v2, s4, v2
	v_cmpx_ne_u32_e64 v2, v1
	s_cbranch_execz .LBB43_33
; %bb.35:                               ;   in Loop: Header=BB43_34 Depth=3
	v_add_nc_u32_e32 v12, 1, v12
	s_andn2_b32 s50, s50, exec_lo
	s_andn2_b32 s49, s49, exec_lo
	v_cmp_ge_i32_e32 vcc_lo, v12, v27
	s_and_b32 s52, vcc_lo, exec_lo
	s_or_b32 s50, s50, s52
	s_branch .LBB43_33
.LBB43_36:                              ;   in Loop: Header=BB43_8 Depth=2
	s_inst_prefetch 0x2
	s_or_b32 exec_lo, exec_lo, s48
	s_mov_b32 s48, s44
                                        ; implicit-def: $vgpr15_vgpr16
	s_and_saveexec_b32 s49, s47
	s_xor_b32 s47, exec_lo, s49
	s_cbranch_execz .LBB43_38
; %bb.37:                               ;   in Loop: Header=BB43_8 Depth=2
	v_lshlrev_b64 v[7:8], 4, v[7:8]
	s_or_b32 s48, s44, exec_lo
	v_add_co_u32 v15, vcc_lo, s6, v7
	v_add_co_ci_u32_e64 v16, null, s7, v8, vcc_lo
	global_store_dwordx2 v[15:16], v[13:14], off
.LBB43_38:                              ;   in Loop: Header=BB43_8 Depth=2
	s_or_b32 exec_lo, exec_lo, s47
	s_andn2_b32 s47, s44, exec_lo
	s_and_b32 s48, s48, exec_lo
	s_or_b32 s47, s47, s48
.LBB43_39:                              ;   in Loop: Header=BB43_8 Depth=2
	s_or_b32 exec_lo, exec_lo, s46
	s_andn2_b32 s44, s44, exec_lo
	s_and_b32 s46, s47, exec_lo
	s_or_b32 s44, s44, s46
.LBB43_40:                              ;   in Loop: Header=BB43_8 Depth=2
	s_or_b32 exec_lo, exec_lo, s45
	s_and_b32 s44, s44, exec_lo
                                        ; implicit-def: $vgpr13_vgpr14
                                        ; implicit-def: $vgpr7_vgpr8
	s_andn2_saveexec_b32 s1, s1
	s_cbranch_execz .LBB43_27
.LBB43_41:                              ;   in Loop: Header=BB43_8 Depth=2
	s_mov_b32 s46, s44
	s_mov_b32 s45, exec_lo
                                        ; implicit-def: $vgpr15_vgpr16
	v_cmpx_lt_i32_e64 v2, v22
	s_cbranch_execz .LBB43_49
; %bb.42:                               ;   in Loop: Header=BB43_8 Depth=2
	s_mov_b32 s47, 0
                                        ; implicit-def: $sgpr46
                                        ; implicit-def: $sgpr49
                                        ; implicit-def: $sgpr48
	s_inst_prefetch 0x1
	s_branch .LBB43_44
	.p2align	6
.LBB43_43:                              ;   in Loop: Header=BB43_44 Depth=3
	s_or_b32 exec_lo, exec_lo, s50
	s_and_b32 s50, exec_lo, s49
	s_or_b32 s47, s50, s47
	s_andn2_b32 s46, s46, exec_lo
	s_and_b32 s50, s48, exec_lo
	s_or_b32 s46, s46, s50
	s_andn2_b32 exec_lo, exec_lo, s47
	s_cbranch_execz .LBB43_46
.LBB43_44:                              ;   Parent Loop BB43_4 Depth=1
                                        ;     Parent Loop BB43_8 Depth=2
                                        ; =>    This Inner Loop Header: Depth=3
	v_add_nc_u32_e32 v11, v6, v2
	s_or_b32 s48, s48, exec_lo
	s_or_b32 s49, s49, exec_lo
	s_mov_b32 s50, exec_lo
	v_ashrrev_i32_e32 v12, 31, v11
	v_lshlrev_b64 v[15:16], 2, v[11:12]
	v_add_co_u32 v15, vcc_lo, s20, v15
	v_add_co_ci_u32_e64 v16, null, s21, v16, vcc_lo
	global_load_dword v5, v[15:16], off
	s_waitcnt vmcnt(0)
	v_subrev_nc_u32_e32 v5, s40, v5
	v_cmpx_ne_u32_e64 v5, v7
	s_cbranch_execz .LBB43_43
; %bb.45:                               ;   in Loop: Header=BB43_44 Depth=3
	v_add_nc_u32_e32 v2, 1, v2
	s_andn2_b32 s49, s49, exec_lo
	s_andn2_b32 s48, s48, exec_lo
	v_cmp_ge_i32_e32 vcc_lo, v2, v22
	s_and_b32 s51, vcc_lo, exec_lo
	s_or_b32 s49, s49, s51
	s_branch .LBB43_43
.LBB43_46:                              ;   in Loop: Header=BB43_8 Depth=2
	s_inst_prefetch 0x2
	s_or_b32 exec_lo, exec_lo, s47
	s_mov_b32 s47, s44
                                        ; implicit-def: $vgpr15_vgpr16
	s_and_saveexec_b32 s48, s46
	s_xor_b32 s46, exec_lo, s48
	s_cbranch_execz .LBB43_48
; %bb.47:                               ;   in Loop: Header=BB43_8 Depth=2
	v_lshlrev_b64 v[7:8], 4, v[11:12]
	s_or_b32 s47, s44, exec_lo
	v_add_co_u32 v15, vcc_lo, s2, v7
	v_add_co_ci_u32_e64 v16, null, s3, v8, vcc_lo
	global_store_dwordx2 v[15:16], v[13:14], off
.LBB43_48:                              ;   in Loop: Header=BB43_8 Depth=2
	s_or_b32 exec_lo, exec_lo, s46
	s_andn2_b32 s46, s44, exec_lo
	s_and_b32 s47, s47, exec_lo
	s_or_b32 s46, s46, s47
.LBB43_49:                              ;   in Loop: Header=BB43_8 Depth=2
	s_or_b32 exec_lo, exec_lo, s45
	s_andn2_b32 s44, s44, exec_lo
	s_and_b32 s45, s46, exec_lo
	s_or_b32 s44, s44, s45
	s_or_b32 exec_lo, exec_lo, s1
	s_and_b32 exec_lo, exec_lo, s44
	s_cbranch_execz .LBB43_7
.LBB43_50:                              ;   in Loop: Header=BB43_8 Depth=2
	global_store_dwordx2 v[15:16], v[9:10], off offset:8
	s_branch .LBB43_7
.LBB43_51:
	s_endpgm
	.section	.rodata,"a",@progbits
	.p2align	6, 0x0
	.amdhsa_kernel _ZN9rocsparseL17kernel_correctionILi1024ELi2E21rocsparse_complex_numIdEiiEEvT3_T2_PKS4_S6_PKS3_PKT1_21rocsparse_index_base_S6_S6_S8_SB_PS9_SC_S6_S6_S8_SB_SD_SC_SB_SD_
		.amdhsa_group_segment_fixed_size 0
		.amdhsa_private_segment_fixed_size 0
		.amdhsa_kernarg_size 160
		.amdhsa_user_sgpr_count 6
		.amdhsa_user_sgpr_private_segment_buffer 1
		.amdhsa_user_sgpr_dispatch_ptr 0
		.amdhsa_user_sgpr_queue_ptr 0
		.amdhsa_user_sgpr_kernarg_segment_ptr 1
		.amdhsa_user_sgpr_dispatch_id 0
		.amdhsa_user_sgpr_flat_scratch_init 0
		.amdhsa_user_sgpr_private_segment_size 0
		.amdhsa_wavefront_size32 1
		.amdhsa_uses_dynamic_stack 0
		.amdhsa_system_sgpr_private_segment_wavefront_offset 0
		.amdhsa_system_sgpr_workgroup_id_x 1
		.amdhsa_system_sgpr_workgroup_id_y 0
		.amdhsa_system_sgpr_workgroup_id_z 0
		.amdhsa_system_sgpr_workgroup_info 0
		.amdhsa_system_vgpr_workitem_id 0
		.amdhsa_next_free_vgpr 37
		.amdhsa_next_free_sgpr 53
		.amdhsa_reserve_vcc 1
		.amdhsa_reserve_flat_scratch 0
		.amdhsa_float_round_mode_32 0
		.amdhsa_float_round_mode_16_64 0
		.amdhsa_float_denorm_mode_32 3
		.amdhsa_float_denorm_mode_16_64 3
		.amdhsa_dx10_clamp 1
		.amdhsa_ieee_mode 1
		.amdhsa_fp16_overflow 0
		.amdhsa_workgroup_processor_mode 1
		.amdhsa_memory_ordered 1
		.amdhsa_forward_progress 1
		.amdhsa_shared_vgpr_count 0
		.amdhsa_exception_fp_ieee_invalid_op 0
		.amdhsa_exception_fp_denorm_src 0
		.amdhsa_exception_fp_ieee_div_zero 0
		.amdhsa_exception_fp_ieee_overflow 0
		.amdhsa_exception_fp_ieee_underflow 0
		.amdhsa_exception_fp_ieee_inexact 0
		.amdhsa_exception_int_div_zero 0
	.end_amdhsa_kernel
	.section	.text._ZN9rocsparseL17kernel_correctionILi1024ELi2E21rocsparse_complex_numIdEiiEEvT3_T2_PKS4_S6_PKS3_PKT1_21rocsparse_index_base_S6_S6_S8_SB_PS9_SC_S6_S6_S8_SB_SD_SC_SB_SD_,"axG",@progbits,_ZN9rocsparseL17kernel_correctionILi1024ELi2E21rocsparse_complex_numIdEiiEEvT3_T2_PKS4_S6_PKS3_PKT1_21rocsparse_index_base_S6_S6_S8_SB_PS9_SC_S6_S6_S8_SB_SD_SC_SB_SD_,comdat
.Lfunc_end43:
	.size	_ZN9rocsparseL17kernel_correctionILi1024ELi2E21rocsparse_complex_numIdEiiEEvT3_T2_PKS4_S6_PKS3_PKT1_21rocsparse_index_base_S6_S6_S8_SB_PS9_SC_S6_S6_S8_SB_SD_SC_SB_SD_, .Lfunc_end43-_ZN9rocsparseL17kernel_correctionILi1024ELi2E21rocsparse_complex_numIdEiiEEvT3_T2_PKS4_S6_PKS3_PKT1_21rocsparse_index_base_S6_S6_S8_SB_PS9_SC_S6_S6_S8_SB_SD_SC_SB_SD_
                                        ; -- End function
	.set _ZN9rocsparseL17kernel_correctionILi1024ELi2E21rocsparse_complex_numIdEiiEEvT3_T2_PKS4_S6_PKS3_PKT1_21rocsparse_index_base_S6_S6_S8_SB_PS9_SC_S6_S6_S8_SB_SD_SC_SB_SD_.num_vgpr, 37
	.set _ZN9rocsparseL17kernel_correctionILi1024ELi2E21rocsparse_complex_numIdEiiEEvT3_T2_PKS4_S6_PKS3_PKT1_21rocsparse_index_base_S6_S6_S8_SB_PS9_SC_S6_S6_S8_SB_SD_SC_SB_SD_.num_agpr, 0
	.set _ZN9rocsparseL17kernel_correctionILi1024ELi2E21rocsparse_complex_numIdEiiEEvT3_T2_PKS4_S6_PKS3_PKT1_21rocsparse_index_base_S6_S6_S8_SB_PS9_SC_S6_S6_S8_SB_SD_SC_SB_SD_.numbered_sgpr, 53
	.set _ZN9rocsparseL17kernel_correctionILi1024ELi2E21rocsparse_complex_numIdEiiEEvT3_T2_PKS4_S6_PKS3_PKT1_21rocsparse_index_base_S6_S6_S8_SB_PS9_SC_S6_S6_S8_SB_SD_SC_SB_SD_.num_named_barrier, 0
	.set _ZN9rocsparseL17kernel_correctionILi1024ELi2E21rocsparse_complex_numIdEiiEEvT3_T2_PKS4_S6_PKS3_PKT1_21rocsparse_index_base_S6_S6_S8_SB_PS9_SC_S6_S6_S8_SB_SD_SC_SB_SD_.private_seg_size, 0
	.set _ZN9rocsparseL17kernel_correctionILi1024ELi2E21rocsparse_complex_numIdEiiEEvT3_T2_PKS4_S6_PKS3_PKT1_21rocsparse_index_base_S6_S6_S8_SB_PS9_SC_S6_S6_S8_SB_SD_SC_SB_SD_.uses_vcc, 1
	.set _ZN9rocsparseL17kernel_correctionILi1024ELi2E21rocsparse_complex_numIdEiiEEvT3_T2_PKS4_S6_PKS3_PKT1_21rocsparse_index_base_S6_S6_S8_SB_PS9_SC_S6_S6_S8_SB_SD_SC_SB_SD_.uses_flat_scratch, 0
	.set _ZN9rocsparseL17kernel_correctionILi1024ELi2E21rocsparse_complex_numIdEiiEEvT3_T2_PKS4_S6_PKS3_PKT1_21rocsparse_index_base_S6_S6_S8_SB_PS9_SC_S6_S6_S8_SB_SD_SC_SB_SD_.has_dyn_sized_stack, 0
	.set _ZN9rocsparseL17kernel_correctionILi1024ELi2E21rocsparse_complex_numIdEiiEEvT3_T2_PKS4_S6_PKS3_PKT1_21rocsparse_index_base_S6_S6_S8_SB_PS9_SC_S6_S6_S8_SB_SD_SC_SB_SD_.has_recursion, 0
	.set _ZN9rocsparseL17kernel_correctionILi1024ELi2E21rocsparse_complex_numIdEiiEEvT3_T2_PKS4_S6_PKS3_PKT1_21rocsparse_index_base_S6_S6_S8_SB_PS9_SC_S6_S6_S8_SB_SD_SC_SB_SD_.has_indirect_call, 0
	.section	.AMDGPU.csdata,"",@progbits
; Kernel info:
; codeLenInByte = 2620
; TotalNumSgprs: 55
; NumVgprs: 37
; ScratchSize: 0
; MemoryBound: 1
; FloatMode: 240
; IeeeMode: 1
; LDSByteSize: 0 bytes/workgroup (compile time only)
; SGPRBlocks: 0
; VGPRBlocks: 4
; NumSGPRsForWavesPerEU: 55
; NumVGPRsForWavesPerEU: 37
; Occupancy: 16
; WaveLimiterHint : 1
; COMPUTE_PGM_RSRC2:SCRATCH_EN: 0
; COMPUTE_PGM_RSRC2:USER_SGPR: 6
; COMPUTE_PGM_RSRC2:TRAP_HANDLER: 0
; COMPUTE_PGM_RSRC2:TGID_X_EN: 1
; COMPUTE_PGM_RSRC2:TGID_Y_EN: 0
; COMPUTE_PGM_RSRC2:TGID_Z_EN: 0
; COMPUTE_PGM_RSRC2:TIDIG_COMP_CNT: 0
	.section	.text._ZN9rocsparseL17kernel_correctionILi1024ELi4E21rocsparse_complex_numIdEiiEEvT3_T2_PKS4_S6_PKS3_PKT1_21rocsparse_index_base_S6_S6_S8_SB_PS9_SC_S6_S6_S8_SB_SD_SC_SB_SD_,"axG",@progbits,_ZN9rocsparseL17kernel_correctionILi1024ELi4E21rocsparse_complex_numIdEiiEEvT3_T2_PKS4_S6_PKS3_PKT1_21rocsparse_index_base_S6_S6_S8_SB_PS9_SC_S6_S6_S8_SB_SD_SC_SB_SD_,comdat
	.globl	_ZN9rocsparseL17kernel_correctionILi1024ELi4E21rocsparse_complex_numIdEiiEEvT3_T2_PKS4_S6_PKS3_PKT1_21rocsparse_index_base_S6_S6_S8_SB_PS9_SC_S6_S6_S8_SB_SD_SC_SB_SD_ ; -- Begin function _ZN9rocsparseL17kernel_correctionILi1024ELi4E21rocsparse_complex_numIdEiiEEvT3_T2_PKS4_S6_PKS3_PKT1_21rocsparse_index_base_S6_S6_S8_SB_PS9_SC_S6_S6_S8_SB_SD_SC_SB_SD_
	.p2align	8
	.type	_ZN9rocsparseL17kernel_correctionILi1024ELi4E21rocsparse_complex_numIdEiiEEvT3_T2_PKS4_S6_PKS3_PKT1_21rocsparse_index_base_S6_S6_S8_SB_PS9_SC_S6_S6_S8_SB_SD_SC_SB_SD_,@function
_ZN9rocsparseL17kernel_correctionILi1024ELi4E21rocsparse_complex_numIdEiiEEvT3_T2_PKS4_S6_PKS3_PKT1_21rocsparse_index_base_S6_S6_S8_SB_PS9_SC_S6_S6_S8_SB_SD_SC_SB_SD_: ; @_ZN9rocsparseL17kernel_correctionILi1024ELi4E21rocsparse_complex_numIdEiiEEvT3_T2_PKS4_S6_PKS3_PKT1_21rocsparse_index_base_S6_S6_S8_SB_PS9_SC_S6_S6_S8_SB_SD_SC_SB_SD_
; %bb.0:
	s_load_dword s33, s[4:5], 0x0
	v_lshrrev_b32_e32 v1, 2, v0
	s_lshl_b32 s34, s6, 10
	s_mov_b32 s0, exec_lo
	v_or_b32_e32 v1, s34, v1
	s_waitcnt lgkmcnt(0)
	v_cmpx_gt_i32_e64 s33, v1
	s_cbranch_execz .LBB44_51
; %bb.1:
	s_addk_i32 s34, 0x400
	v_cmp_gt_u32_e32 vcc_lo, s34, v1
	s_and_b32 exec_lo, exec_lo, vcc_lo
	s_cbranch_execz .LBB44_51
; %bb.2:
	s_clause 0x8
	s_load_dwordx4 s[36:39], s[4:5], 0x90
	s_load_dwordx8 s[8:15], s[4:5], 0x60
	s_load_dword s35, s[4:5], 0x28
	s_load_dwordx8 s[16:23], s[4:5], 0x30
	s_load_dwordx8 s[24:31], s[4:5], 0x8
	s_load_dwordx2 s[2:3], s[4:5], 0x50
	s_load_dword s40, s[4:5], 0x58
	s_load_dwordx2 s[6:7], s[4:5], 0x80
	s_load_dword s4, s[4:5], 0x88
	v_and_b32_e32 v0, 3, v0
	v_mov_b32_e32 v3, 0
	s_mov_b32 s5, 0
	s_waitcnt lgkmcnt(0)
	v_subrev_nc_u32_e32 v0, s35, v0
	s_branch .LBB44_4
.LBB44_3:                               ;   in Loop: Header=BB44_4 Depth=1
	s_or_b32 exec_lo, exec_lo, s41
	v_add_nc_u32_e32 v1, 0x100, v1
	v_cmp_le_u32_e32 vcc_lo, s34, v1
	s_or_b32 s5, vcc_lo, s5
	s_andn2_b32 exec_lo, exec_lo, s5
	s_cbranch_execz .LBB44_51
.LBB44_4:                               ; =>This Loop Header: Depth=1
                                        ;     Child Loop BB44_8 Depth 2
                                        ;       Child Loop BB44_12 Depth 3
                                        ;       Child Loop BB44_34 Depth 3
	;; [unrolled: 1-line block ×3, first 2 shown]
	s_mov_b32 s41, exec_lo
	v_cmpx_gt_i32_e64 s33, v1
	s_cbranch_execz .LBB44_3
; %bb.5:                                ;   in Loop: Header=BB44_4 Depth=1
	v_ashrrev_i32_e32 v2, 31, v1
	v_lshlrev_b64 v[5:6], 2, v[1:2]
	v_add_co_u32 v7, vcc_lo, s24, v5
	v_add_co_ci_u32_e64 v8, null, s25, v6, vcc_lo
	v_add_co_u32 v9, vcc_lo, s26, v5
	v_add_co_ci_u32_e64 v10, null, s27, v6, vcc_lo
	global_load_dword v2, v[7:8], off
	global_load_dword v7, v[9:10], off
	s_waitcnt vmcnt(1)
	v_add_nc_u32_e32 v4, v0, v2
	s_waitcnt vmcnt(0)
	v_subrev_nc_u32_e32 v21, s35, v7
	v_cmp_lt_i32_e32 vcc_lo, v4, v21
	s_and_b32 exec_lo, exec_lo, vcc_lo
	s_cbranch_execz .LBB44_3
; %bb.6:                                ;   in Loop: Header=BB44_4 Depth=1
	v_add_co_u32 v7, vcc_lo, s16, v5
	v_add_co_ci_u32_e64 v8, null, s17, v6, vcc_lo
	v_add_co_u32 v5, vcc_lo, s18, v5
	v_add_co_ci_u32_e64 v6, null, s19, v6, vcc_lo
	global_load_dword v2, v[7:8], off
	s_mov_b32 s42, 0
	global_load_dword v5, v[5:6], off
	s_waitcnt vmcnt(1)
	v_subrev_nc_u32_e32 v6, s40, v2
	s_waitcnt vmcnt(0)
	v_sub_nc_u32_e32 v22, v5, v2
	v_ashrrev_i32_e32 v7, 31, v6
	v_cmp_lt_i32_e64 s0, 0, v22
	v_lshlrev_b64 v[8:9], 2, v[6:7]
	v_lshlrev_b64 v[10:11], 4, v[6:7]
	v_add_co_u32 v23, vcc_lo, s20, v8
	v_add_co_ci_u32_e64 v24, null, s21, v9, vcc_lo
	v_add_co_u32 v25, vcc_lo, s22, v10
	v_add_co_ci_u32_e64 v26, null, s23, v11, vcc_lo
	s_branch .LBB44_8
.LBB44_7:                               ;   in Loop: Header=BB44_8 Depth=2
	s_or_b32 exec_lo, exec_lo, s43
	v_add_nc_u32_e32 v4, 4, v4
	v_cmp_ge_i32_e32 vcc_lo, v4, v21
	s_or_b32 s42, vcc_lo, s42
	s_andn2_b32 exec_lo, exec_lo, s42
	s_cbranch_execz .LBB44_3
.LBB44_8:                               ;   Parent Loop BB44_4 Depth=1
                                        ; =>  This Loop Header: Depth=2
                                        ;       Child Loop BB44_12 Depth 3
                                        ;       Child Loop BB44_34 Depth 3
	;; [unrolled: 1-line block ×3, first 2 shown]
	v_ashrrev_i32_e32 v5, 31, v4
	v_mov_b32_e32 v15, 0
	v_mov_b32_e32 v16, 0
	v_lshlrev_b64 v[7:8], 2, v[4:5]
	v_add_co_u32 v7, vcc_lo, s28, v7
	v_add_co_ci_u32_e64 v8, null, s29, v8, vcc_lo
	global_load_dword v2, v[7:8], off
	s_waitcnt vmcnt(0)
	v_subrev_nc_u32_e32 v7, s35, v2
	v_mov_b32_e32 v2, 0
	v_ashrrev_i32_e32 v8, 31, v7
	v_lshlrev_b64 v[9:10], 2, v[7:8]
	v_add_co_u32 v11, vcc_lo, s8, v9
	v_add_co_ci_u32_e64 v12, null, s9, v10, vcc_lo
	v_add_co_u32 v9, vcc_lo, s10, v9
	v_add_co_ci_u32_e64 v10, null, s11, v10, vcc_lo
	global_load_dword v12, v[11:12], off
	global_load_dword v13, v[9:10], off
	v_mov_b32_e32 v9, 0
	v_mov_b32_e32 v10, 0
	s_waitcnt vmcnt(1)
	v_subrev_nc_u32_e32 v11, s4, v12
	s_waitcnt vmcnt(0)
	v_sub_nc_u32_e32 v27, v13, v12
	v_mov_b32_e32 v12, v2
	s_and_saveexec_b32 s43, s0
	s_cbranch_execz .LBB44_16
; %bb.9:                                ;   in Loop: Header=BB44_8 Depth=2
	v_ashrrev_i32_e32 v12, 31, v11
	v_mov_b32_e32 v9, 0
	v_mov_b32_e32 v10, 0
	v_mov_b32_e32 v2, 0
	s_mov_b32 s44, 0
	v_lshlrev_b64 v[14:15], 2, v[11:12]
	v_lshlrev_b64 v[12:13], 4, v[11:12]
                                        ; implicit-def: $sgpr45
	v_add_co_u32 v14, vcc_lo, s12, v14
	v_add_co_ci_u32_e64 v17, null, s13, v15, vcc_lo
	v_add_co_u32 v18, vcc_lo, s14, v12
	v_mov_b32_e32 v15, 0
	v_add_co_ci_u32_e64 v19, null, s15, v13, vcc_lo
	v_mov_b32_e32 v12, 0
	v_mov_b32_e32 v16, 0
	s_branch .LBB44_12
.LBB44_10:                              ;   in Loop: Header=BB44_12 Depth=3
	s_or_b32 exec_lo, exec_lo, s1
	v_cmp_le_i32_e32 vcc_lo, v20, v28
	v_cmp_ge_i32_e64 s1, v20, v28
	v_add_co_ci_u32_e64 v2, null, 0, v2, vcc_lo
	v_add_co_ci_u32_e64 v12, null, 0, v12, s1
	s_andn2_b32 s1, s45, exec_lo
	v_cmp_ge_i32_e32 vcc_lo, v2, v22
	s_and_b32 s45, vcc_lo, exec_lo
	s_or_b32 s45, s1, s45
.LBB44_11:                              ;   in Loop: Header=BB44_12 Depth=3
	s_or_b32 exec_lo, exec_lo, s46
	s_and_b32 s1, exec_lo, s45
	s_or_b32 s44, s1, s44
	s_andn2_b32 exec_lo, exec_lo, s44
	s_cbranch_execz .LBB44_15
.LBB44_12:                              ;   Parent Loop BB44_4 Depth=1
                                        ;     Parent Loop BB44_8 Depth=2
                                        ; =>    This Inner Loop Header: Depth=3
	s_or_b32 s45, s45, exec_lo
	s_mov_b32 s46, exec_lo
	v_cmpx_lt_i32_e64 v12, v27
	s_cbranch_execz .LBB44_11
; %bb.13:                               ;   in Loop: Header=BB44_12 Depth=3
	v_mov_b32_e32 v13, v3
	v_lshlrev_b64 v[28:29], 2, v[2:3]
	s_mov_b32 s1, exec_lo
	v_lshlrev_b64 v[30:31], 2, v[12:13]
	v_add_co_u32 v28, vcc_lo, v23, v28
	v_add_co_ci_u32_e64 v29, null, v24, v29, vcc_lo
	v_add_co_u32 v30, vcc_lo, v14, v30
	v_add_co_ci_u32_e64 v31, null, v17, v31, vcc_lo
	global_load_dword v20, v[28:29], off
	global_load_dword v28, v[30:31], off
	s_waitcnt vmcnt(1)
	v_subrev_nc_u32_e32 v20, s40, v20
	s_waitcnt vmcnt(0)
	v_subrev_nc_u32_e32 v28, s4, v28
	v_cmpx_eq_u32_e64 v20, v28
	s_cbranch_execz .LBB44_10
; %bb.14:                               ;   in Loop: Header=BB44_12 Depth=3
	v_lshlrev_b64 v[29:30], 4, v[2:3]
	v_lshlrev_b64 v[31:32], 4, v[12:13]
	v_add_co_u32 v29, vcc_lo, v25, v29
	v_add_co_ci_u32_e64 v30, null, v26, v30, vcc_lo
	v_add_co_u32 v33, vcc_lo, v18, v31
	v_add_co_ci_u32_e64 v34, null, v19, v32, vcc_lo
	global_load_dwordx4 v[29:32], v[29:30], off
	global_load_dwordx4 v[33:36], v[33:34], off
	s_waitcnt vmcnt(0)
	v_fma_f64 v[9:10], v[29:30], v[33:34], v[9:10]
	v_fma_f64 v[15:16], v[31:32], v[33:34], v[15:16]
	v_fma_f64 v[9:10], -v[31:32], v[35:36], v[9:10]
	v_fma_f64 v[15:16], v[29:30], v[35:36], v[15:16]
	s_branch .LBB44_10
.LBB44_15:                              ;   in Loop: Header=BB44_8 Depth=2
	s_or_b32 exec_lo, exec_lo, s44
.LBB44_16:                              ;   in Loop: Header=BB44_8 Depth=2
	s_or_b32 exec_lo, exec_lo, s43
	v_lshlrev_b64 v[13:14], 4, v[4:5]
	v_cmp_le_i32_e64 s1, v1, v7
	s_mov_b32 s43, exec_lo
	v_add_co_u32 v13, vcc_lo, s30, v13
	v_add_co_ci_u32_e64 v14, null, s31, v14, vcc_lo
	global_load_dwordx4 v[17:20], v[13:14], off
	s_waitcnt vmcnt(0)
	v_add_f64 v[13:14], v[17:18], -v[9:10]
	v_add_f64 v[9:10], v[19:20], -v[15:16]
	v_cmpx_gt_i32_e64 v1, v7
	s_cbranch_execz .LBB44_18
; %bb.17:                               ;   in Loop: Header=BB44_8 Depth=2
	v_lshlrev_b64 v[15:16], 4, v[7:8]
	v_add_co_u32 v15, vcc_lo, s36, v15
	v_add_co_ci_u32_e64 v16, null, s37, v16, vcc_lo
	global_load_dwordx4 v[15:18], v[15:16], off
	s_waitcnt vmcnt(0)
	v_mul_f64 v[19:20], v[17:18], v[17:18]
	v_fma_f64 v[19:20], v[15:16], v[15:16], v[19:20]
	v_div_scale_f64 v[28:29], null, v[19:20], v[19:20], 1.0
	v_div_scale_f64 v[34:35], vcc_lo, 1.0, v[19:20], 1.0
	v_rcp_f64_e32 v[30:31], v[28:29]
	v_fma_f64 v[32:33], -v[28:29], v[30:31], 1.0
	v_fma_f64 v[30:31], v[30:31], v[32:33], v[30:31]
	v_fma_f64 v[32:33], -v[28:29], v[30:31], 1.0
	v_fma_f64 v[30:31], v[30:31], v[32:33], v[30:31]
	v_mul_f64 v[32:33], v[34:35], v[30:31]
	v_fma_f64 v[28:29], -v[28:29], v[32:33], v[34:35]
	v_div_fmas_f64 v[28:29], v[28:29], v[30:31], v[32:33]
	v_mul_f64 v[30:31], v[9:10], v[17:18]
	v_mul_f64 v[17:18], v[17:18], -v[13:14]
	v_div_fixup_f64 v[19:20], v[28:29], v[19:20], 1.0
	v_fma_f64 v[13:14], v[13:14], v[15:16], v[30:31]
	v_fma_f64 v[9:10], v[9:10], v[15:16], v[17:18]
	v_mul_f64 v[13:14], v[13:14], v[19:20]
	v_mul_f64 v[9:10], v[9:10], v[19:20]
.LBB44_18:                              ;   in Loop: Header=BB44_8 Depth=2
	s_or_b32 exec_lo, exec_lo, s43
	v_cmp_gt_f64_e32 vcc_lo, 0, v[13:14]
	v_xor_b32_e32 v5, 0x80000000, v14
	v_xor_b32_e32 v17, 0x80000000, v10
	v_mov_b32_e32 v15, v13
	s_mov_b32 s43, exec_lo
                                        ; implicit-def: $vgpr19_vgpr20
	v_cndmask_b32_e32 v16, v14, v5, vcc_lo
	v_cmp_gt_f64_e32 vcc_lo, 0, v[9:10]
	v_cndmask_b32_e32 v18, v10, v17, vcc_lo
	v_mov_b32_e32 v17, v9
	v_cmpx_ngt_f64_e32 v[15:16], v[17:18]
	s_xor_b32 s43, exec_lo, s43
	s_cbranch_execnz .LBB44_21
; %bb.19:                               ;   in Loop: Header=BB44_8 Depth=2
	s_andn2_saveexec_b32 s43, s43
	s_cbranch_execnz .LBB44_24
.LBB44_20:                              ;   in Loop: Header=BB44_8 Depth=2
	s_or_b32 exec_lo, exec_lo, s43
	v_cmp_class_f64_e64 s44, v[19:20], 0x1f8
	s_and_saveexec_b32 s43, s44
	s_cbranch_execz .LBB44_7
	s_branch .LBB44_25
.LBB44_21:                              ;   in Loop: Header=BB44_8 Depth=2
	v_mov_b32_e32 v19, 0
	v_mov_b32_e32 v20, 0
	s_mov_b32 s44, exec_lo
	v_cmpx_neq_f64_e32 0, v[9:10]
	s_cbranch_execz .LBB44_23
; %bb.22:                               ;   in Loop: Header=BB44_8 Depth=2
	v_div_scale_f64 v[19:20], null, v[17:18], v[17:18], v[15:16]
	v_div_scale_f64 v[32:33], vcc_lo, v[15:16], v[17:18], v[15:16]
	v_rcp_f64_e32 v[28:29], v[19:20]
	v_fma_f64 v[30:31], -v[19:20], v[28:29], 1.0
	v_fma_f64 v[28:29], v[28:29], v[30:31], v[28:29]
	v_fma_f64 v[30:31], -v[19:20], v[28:29], 1.0
	v_fma_f64 v[28:29], v[28:29], v[30:31], v[28:29]
	v_mul_f64 v[30:31], v[32:33], v[28:29]
	v_fma_f64 v[19:20], -v[19:20], v[30:31], v[32:33]
	v_div_fmas_f64 v[19:20], v[19:20], v[28:29], v[30:31]
	v_div_fixup_f64 v[15:16], v[19:20], v[17:18], v[15:16]
	v_fma_f64 v[15:16], v[15:16], v[15:16], 1.0
	v_cmp_gt_f64_e32 vcc_lo, 0x10000000, v[15:16]
	v_cndmask_b32_e64 v5, 0, 0x100, vcc_lo
	v_ldexp_f64 v[15:16], v[15:16], v5
	v_cndmask_b32_e64 v5, 0, 0xffffff80, vcc_lo
	v_rsq_f64_e32 v[19:20], v[15:16]
	v_cmp_class_f64_e64 vcc_lo, v[15:16], 0x260
	v_mul_f64 v[28:29], v[15:16], v[19:20]
	v_mul_f64 v[19:20], v[19:20], 0.5
	v_fma_f64 v[30:31], -v[19:20], v[28:29], 0.5
	v_fma_f64 v[28:29], v[28:29], v[30:31], v[28:29]
	v_fma_f64 v[19:20], v[19:20], v[30:31], v[19:20]
	v_fma_f64 v[30:31], -v[28:29], v[28:29], v[15:16]
	v_fma_f64 v[28:29], v[30:31], v[19:20], v[28:29]
	v_fma_f64 v[30:31], -v[28:29], v[28:29], v[15:16]
	v_fma_f64 v[19:20], v[30:31], v[19:20], v[28:29]
	v_ldexp_f64 v[19:20], v[19:20], v5
	v_cndmask_b32_e32 v16, v20, v16, vcc_lo
	v_cndmask_b32_e32 v15, v19, v15, vcc_lo
	v_mul_f64 v[19:20], v[17:18], v[15:16]
.LBB44_23:                              ;   in Loop: Header=BB44_8 Depth=2
	s_or_b32 exec_lo, exec_lo, s44
                                        ; implicit-def: $vgpr15_vgpr16
                                        ; implicit-def: $vgpr17_vgpr18
	s_andn2_saveexec_b32 s43, s43
	s_cbranch_execz .LBB44_20
.LBB44_24:                              ;   in Loop: Header=BB44_8 Depth=2
	v_div_scale_f64 v[19:20], null, v[15:16], v[15:16], v[17:18]
	v_div_scale_f64 v[32:33], vcc_lo, v[17:18], v[15:16], v[17:18]
	v_rcp_f64_e32 v[28:29], v[19:20]
	v_fma_f64 v[30:31], -v[19:20], v[28:29], 1.0
	v_fma_f64 v[28:29], v[28:29], v[30:31], v[28:29]
	v_fma_f64 v[30:31], -v[19:20], v[28:29], 1.0
	v_fma_f64 v[28:29], v[28:29], v[30:31], v[28:29]
	v_mul_f64 v[30:31], v[32:33], v[28:29]
	v_fma_f64 v[19:20], -v[19:20], v[30:31], v[32:33]
	v_div_fmas_f64 v[19:20], v[19:20], v[28:29], v[30:31]
	v_div_fixup_f64 v[17:18], v[19:20], v[15:16], v[17:18]
	v_fma_f64 v[17:18], v[17:18], v[17:18], 1.0
	v_cmp_gt_f64_e32 vcc_lo, 0x10000000, v[17:18]
	v_cndmask_b32_e64 v5, 0, 0x100, vcc_lo
	v_ldexp_f64 v[17:18], v[17:18], v5
	v_cndmask_b32_e64 v5, 0, 0xffffff80, vcc_lo
	v_rsq_f64_e32 v[19:20], v[17:18]
	v_cmp_class_f64_e64 vcc_lo, v[17:18], 0x260
	v_mul_f64 v[28:29], v[17:18], v[19:20]
	v_mul_f64 v[19:20], v[19:20], 0.5
	v_fma_f64 v[30:31], -v[19:20], v[28:29], 0.5
	v_fma_f64 v[28:29], v[28:29], v[30:31], v[28:29]
	v_fma_f64 v[19:20], v[19:20], v[30:31], v[19:20]
	v_fma_f64 v[30:31], -v[28:29], v[28:29], v[17:18]
	v_fma_f64 v[28:29], v[30:31], v[19:20], v[28:29]
	v_fma_f64 v[30:31], -v[28:29], v[28:29], v[17:18]
	v_fma_f64 v[19:20], v[30:31], v[19:20], v[28:29]
	v_ldexp_f64 v[19:20], v[19:20], v5
	v_cndmask_b32_e32 v18, v20, v18, vcc_lo
	v_cndmask_b32_e32 v17, v19, v17, vcc_lo
	v_mul_f64 v[19:20], v[15:16], v[17:18]
	s_or_b32 exec_lo, exec_lo, s43
	v_cmp_class_f64_e64 s44, v[19:20], 0x1f8
	s_and_saveexec_b32 s43, s44
	s_cbranch_execz .LBB44_7
.LBB44_25:                              ;   in Loop: Header=BB44_8 Depth=2
	s_mov_b32 s44, 0
                                        ; implicit-def: $vgpr15_vgpr16
	s_and_saveexec_b32 s45, s1
	s_xor_b32 s1, exec_lo, s45
	s_cbranch_execnz .LBB44_28
; %bb.26:                               ;   in Loop: Header=BB44_8 Depth=2
	s_andn2_saveexec_b32 s1, s1
	s_cbranch_execnz .LBB44_41
.LBB44_27:                              ;   in Loop: Header=BB44_8 Depth=2
	s_or_b32 exec_lo, exec_lo, s1
	s_and_b32 exec_lo, exec_lo, s44
	s_cbranch_execz .LBB44_7
	s_branch .LBB44_50
.LBB44_28:                              ;   in Loop: Header=BB44_8 Depth=2
	s_mov_b32 s45, exec_lo
                                        ; implicit-def: $vgpr15_vgpr16
	v_cmpx_ge_i32_e64 v1, v7
	s_xor_b32 s45, exec_lo, s45
	s_cbranch_execz .LBB44_30
; %bb.29:                               ;   in Loop: Header=BB44_8 Depth=2
	v_lshlrev_b64 v[7:8], 4, v[7:8]
	s_mov_b32 s44, exec_lo
                                        ; implicit-def: $vgpr12
                                        ; implicit-def: $vgpr27
                                        ; implicit-def: $vgpr11
	v_add_co_u32 v15, vcc_lo, s38, v7
	v_add_co_ci_u32_e64 v16, null, s39, v8, vcc_lo
	global_store_dwordx2 v[15:16], v[13:14], off
                                        ; implicit-def: $vgpr13_vgpr14
.LBB44_30:                              ;   in Loop: Header=BB44_8 Depth=2
	s_andn2_saveexec_b32 s45, s45
	s_cbranch_execz .LBB44_40
; %bb.31:                               ;   in Loop: Header=BB44_8 Depth=2
	s_mov_b32 s47, s44
	s_mov_b32 s46, exec_lo
                                        ; implicit-def: $vgpr15_vgpr16
	v_cmpx_lt_i32_e64 v12, v27
	s_cbranch_execz .LBB44_39
; %bb.32:                               ;   in Loop: Header=BB44_8 Depth=2
	s_mov_b32 s48, 0
                                        ; implicit-def: $sgpr47
                                        ; implicit-def: $sgpr50
                                        ; implicit-def: $sgpr49
	s_inst_prefetch 0x1
	s_branch .LBB44_34
	.p2align	6
.LBB44_33:                              ;   in Loop: Header=BB44_34 Depth=3
	s_or_b32 exec_lo, exec_lo, s51
	s_and_b32 s51, exec_lo, s50
	s_or_b32 s48, s51, s48
	s_andn2_b32 s47, s47, exec_lo
	s_and_b32 s51, s49, exec_lo
	s_or_b32 s47, s47, s51
	s_andn2_b32 exec_lo, exec_lo, s48
	s_cbranch_execz .LBB44_36
.LBB44_34:                              ;   Parent Loop BB44_4 Depth=1
                                        ;     Parent Loop BB44_8 Depth=2
                                        ; =>    This Inner Loop Header: Depth=3
	v_add_nc_u32_e32 v7, v11, v12
	s_or_b32 s49, s49, exec_lo
	s_or_b32 s50, s50, exec_lo
	s_mov_b32 s51, exec_lo
	v_ashrrev_i32_e32 v8, 31, v7
	v_lshlrev_b64 v[15:16], 2, v[7:8]
	v_add_co_u32 v15, vcc_lo, s12, v15
	v_add_co_ci_u32_e64 v16, null, s13, v16, vcc_lo
	global_load_dword v2, v[15:16], off
	s_waitcnt vmcnt(0)
	v_subrev_nc_u32_e32 v2, s4, v2
	v_cmpx_ne_u32_e64 v2, v1
	s_cbranch_execz .LBB44_33
; %bb.35:                               ;   in Loop: Header=BB44_34 Depth=3
	v_add_nc_u32_e32 v12, 1, v12
	s_andn2_b32 s50, s50, exec_lo
	s_andn2_b32 s49, s49, exec_lo
	v_cmp_ge_i32_e32 vcc_lo, v12, v27
	s_and_b32 s52, vcc_lo, exec_lo
	s_or_b32 s50, s50, s52
	s_branch .LBB44_33
.LBB44_36:                              ;   in Loop: Header=BB44_8 Depth=2
	s_inst_prefetch 0x2
	s_or_b32 exec_lo, exec_lo, s48
	s_mov_b32 s48, s44
                                        ; implicit-def: $vgpr15_vgpr16
	s_and_saveexec_b32 s49, s47
	s_xor_b32 s47, exec_lo, s49
	s_cbranch_execz .LBB44_38
; %bb.37:                               ;   in Loop: Header=BB44_8 Depth=2
	v_lshlrev_b64 v[7:8], 4, v[7:8]
	s_or_b32 s48, s44, exec_lo
	v_add_co_u32 v15, vcc_lo, s6, v7
	v_add_co_ci_u32_e64 v16, null, s7, v8, vcc_lo
	global_store_dwordx2 v[15:16], v[13:14], off
.LBB44_38:                              ;   in Loop: Header=BB44_8 Depth=2
	s_or_b32 exec_lo, exec_lo, s47
	s_andn2_b32 s47, s44, exec_lo
	s_and_b32 s48, s48, exec_lo
	s_or_b32 s47, s47, s48
.LBB44_39:                              ;   in Loop: Header=BB44_8 Depth=2
	s_or_b32 exec_lo, exec_lo, s46
	s_andn2_b32 s44, s44, exec_lo
	s_and_b32 s46, s47, exec_lo
	s_or_b32 s44, s44, s46
.LBB44_40:                              ;   in Loop: Header=BB44_8 Depth=2
	s_or_b32 exec_lo, exec_lo, s45
	s_and_b32 s44, s44, exec_lo
                                        ; implicit-def: $vgpr13_vgpr14
                                        ; implicit-def: $vgpr7_vgpr8
	s_andn2_saveexec_b32 s1, s1
	s_cbranch_execz .LBB44_27
.LBB44_41:                              ;   in Loop: Header=BB44_8 Depth=2
	s_mov_b32 s46, s44
	s_mov_b32 s45, exec_lo
                                        ; implicit-def: $vgpr15_vgpr16
	v_cmpx_lt_i32_e64 v2, v22
	s_cbranch_execz .LBB44_49
; %bb.42:                               ;   in Loop: Header=BB44_8 Depth=2
	s_mov_b32 s47, 0
                                        ; implicit-def: $sgpr46
                                        ; implicit-def: $sgpr49
                                        ; implicit-def: $sgpr48
	s_inst_prefetch 0x1
	s_branch .LBB44_44
	.p2align	6
.LBB44_43:                              ;   in Loop: Header=BB44_44 Depth=3
	s_or_b32 exec_lo, exec_lo, s50
	s_and_b32 s50, exec_lo, s49
	s_or_b32 s47, s50, s47
	s_andn2_b32 s46, s46, exec_lo
	s_and_b32 s50, s48, exec_lo
	s_or_b32 s46, s46, s50
	s_andn2_b32 exec_lo, exec_lo, s47
	s_cbranch_execz .LBB44_46
.LBB44_44:                              ;   Parent Loop BB44_4 Depth=1
                                        ;     Parent Loop BB44_8 Depth=2
                                        ; =>    This Inner Loop Header: Depth=3
	v_add_nc_u32_e32 v11, v6, v2
	s_or_b32 s48, s48, exec_lo
	s_or_b32 s49, s49, exec_lo
	s_mov_b32 s50, exec_lo
	v_ashrrev_i32_e32 v12, 31, v11
	v_lshlrev_b64 v[15:16], 2, v[11:12]
	v_add_co_u32 v15, vcc_lo, s20, v15
	v_add_co_ci_u32_e64 v16, null, s21, v16, vcc_lo
	global_load_dword v5, v[15:16], off
	s_waitcnt vmcnt(0)
	v_subrev_nc_u32_e32 v5, s40, v5
	v_cmpx_ne_u32_e64 v5, v7
	s_cbranch_execz .LBB44_43
; %bb.45:                               ;   in Loop: Header=BB44_44 Depth=3
	v_add_nc_u32_e32 v2, 1, v2
	s_andn2_b32 s49, s49, exec_lo
	s_andn2_b32 s48, s48, exec_lo
	v_cmp_ge_i32_e32 vcc_lo, v2, v22
	s_and_b32 s51, vcc_lo, exec_lo
	s_or_b32 s49, s49, s51
	s_branch .LBB44_43
.LBB44_46:                              ;   in Loop: Header=BB44_8 Depth=2
	s_inst_prefetch 0x2
	s_or_b32 exec_lo, exec_lo, s47
	s_mov_b32 s47, s44
                                        ; implicit-def: $vgpr15_vgpr16
	s_and_saveexec_b32 s48, s46
	s_xor_b32 s46, exec_lo, s48
	s_cbranch_execz .LBB44_48
; %bb.47:                               ;   in Loop: Header=BB44_8 Depth=2
	v_lshlrev_b64 v[7:8], 4, v[11:12]
	s_or_b32 s47, s44, exec_lo
	v_add_co_u32 v15, vcc_lo, s2, v7
	v_add_co_ci_u32_e64 v16, null, s3, v8, vcc_lo
	global_store_dwordx2 v[15:16], v[13:14], off
.LBB44_48:                              ;   in Loop: Header=BB44_8 Depth=2
	s_or_b32 exec_lo, exec_lo, s46
	s_andn2_b32 s46, s44, exec_lo
	s_and_b32 s47, s47, exec_lo
	s_or_b32 s46, s46, s47
.LBB44_49:                              ;   in Loop: Header=BB44_8 Depth=2
	s_or_b32 exec_lo, exec_lo, s45
	s_andn2_b32 s44, s44, exec_lo
	s_and_b32 s45, s46, exec_lo
	s_or_b32 s44, s44, s45
	s_or_b32 exec_lo, exec_lo, s1
	s_and_b32 exec_lo, exec_lo, s44
	s_cbranch_execz .LBB44_7
.LBB44_50:                              ;   in Loop: Header=BB44_8 Depth=2
	global_store_dwordx2 v[15:16], v[9:10], off offset:8
	s_branch .LBB44_7
.LBB44_51:
	s_endpgm
	.section	.rodata,"a",@progbits
	.p2align	6, 0x0
	.amdhsa_kernel _ZN9rocsparseL17kernel_correctionILi1024ELi4E21rocsparse_complex_numIdEiiEEvT3_T2_PKS4_S6_PKS3_PKT1_21rocsparse_index_base_S6_S6_S8_SB_PS9_SC_S6_S6_S8_SB_SD_SC_SB_SD_
		.amdhsa_group_segment_fixed_size 0
		.amdhsa_private_segment_fixed_size 0
		.amdhsa_kernarg_size 160
		.amdhsa_user_sgpr_count 6
		.amdhsa_user_sgpr_private_segment_buffer 1
		.amdhsa_user_sgpr_dispatch_ptr 0
		.amdhsa_user_sgpr_queue_ptr 0
		.amdhsa_user_sgpr_kernarg_segment_ptr 1
		.amdhsa_user_sgpr_dispatch_id 0
		.amdhsa_user_sgpr_flat_scratch_init 0
		.amdhsa_user_sgpr_private_segment_size 0
		.amdhsa_wavefront_size32 1
		.amdhsa_uses_dynamic_stack 0
		.amdhsa_system_sgpr_private_segment_wavefront_offset 0
		.amdhsa_system_sgpr_workgroup_id_x 1
		.amdhsa_system_sgpr_workgroup_id_y 0
		.amdhsa_system_sgpr_workgroup_id_z 0
		.amdhsa_system_sgpr_workgroup_info 0
		.amdhsa_system_vgpr_workitem_id 0
		.amdhsa_next_free_vgpr 37
		.amdhsa_next_free_sgpr 53
		.amdhsa_reserve_vcc 1
		.amdhsa_reserve_flat_scratch 0
		.amdhsa_float_round_mode_32 0
		.amdhsa_float_round_mode_16_64 0
		.amdhsa_float_denorm_mode_32 3
		.amdhsa_float_denorm_mode_16_64 3
		.amdhsa_dx10_clamp 1
		.amdhsa_ieee_mode 1
		.amdhsa_fp16_overflow 0
		.amdhsa_workgroup_processor_mode 1
		.amdhsa_memory_ordered 1
		.amdhsa_forward_progress 1
		.amdhsa_shared_vgpr_count 0
		.amdhsa_exception_fp_ieee_invalid_op 0
		.amdhsa_exception_fp_denorm_src 0
		.amdhsa_exception_fp_ieee_div_zero 0
		.amdhsa_exception_fp_ieee_overflow 0
		.amdhsa_exception_fp_ieee_underflow 0
		.amdhsa_exception_fp_ieee_inexact 0
		.amdhsa_exception_int_div_zero 0
	.end_amdhsa_kernel
	.section	.text._ZN9rocsparseL17kernel_correctionILi1024ELi4E21rocsparse_complex_numIdEiiEEvT3_T2_PKS4_S6_PKS3_PKT1_21rocsparse_index_base_S6_S6_S8_SB_PS9_SC_S6_S6_S8_SB_SD_SC_SB_SD_,"axG",@progbits,_ZN9rocsparseL17kernel_correctionILi1024ELi4E21rocsparse_complex_numIdEiiEEvT3_T2_PKS4_S6_PKS3_PKT1_21rocsparse_index_base_S6_S6_S8_SB_PS9_SC_S6_S6_S8_SB_SD_SC_SB_SD_,comdat
.Lfunc_end44:
	.size	_ZN9rocsparseL17kernel_correctionILi1024ELi4E21rocsparse_complex_numIdEiiEEvT3_T2_PKS4_S6_PKS3_PKT1_21rocsparse_index_base_S6_S6_S8_SB_PS9_SC_S6_S6_S8_SB_SD_SC_SB_SD_, .Lfunc_end44-_ZN9rocsparseL17kernel_correctionILi1024ELi4E21rocsparse_complex_numIdEiiEEvT3_T2_PKS4_S6_PKS3_PKT1_21rocsparse_index_base_S6_S6_S8_SB_PS9_SC_S6_S6_S8_SB_SD_SC_SB_SD_
                                        ; -- End function
	.set _ZN9rocsparseL17kernel_correctionILi1024ELi4E21rocsparse_complex_numIdEiiEEvT3_T2_PKS4_S6_PKS3_PKT1_21rocsparse_index_base_S6_S6_S8_SB_PS9_SC_S6_S6_S8_SB_SD_SC_SB_SD_.num_vgpr, 37
	.set _ZN9rocsparseL17kernel_correctionILi1024ELi4E21rocsparse_complex_numIdEiiEEvT3_T2_PKS4_S6_PKS3_PKT1_21rocsparse_index_base_S6_S6_S8_SB_PS9_SC_S6_S6_S8_SB_SD_SC_SB_SD_.num_agpr, 0
	.set _ZN9rocsparseL17kernel_correctionILi1024ELi4E21rocsparse_complex_numIdEiiEEvT3_T2_PKS4_S6_PKS3_PKT1_21rocsparse_index_base_S6_S6_S8_SB_PS9_SC_S6_S6_S8_SB_SD_SC_SB_SD_.numbered_sgpr, 53
	.set _ZN9rocsparseL17kernel_correctionILi1024ELi4E21rocsparse_complex_numIdEiiEEvT3_T2_PKS4_S6_PKS3_PKT1_21rocsparse_index_base_S6_S6_S8_SB_PS9_SC_S6_S6_S8_SB_SD_SC_SB_SD_.num_named_barrier, 0
	.set _ZN9rocsparseL17kernel_correctionILi1024ELi4E21rocsparse_complex_numIdEiiEEvT3_T2_PKS4_S6_PKS3_PKT1_21rocsparse_index_base_S6_S6_S8_SB_PS9_SC_S6_S6_S8_SB_SD_SC_SB_SD_.private_seg_size, 0
	.set _ZN9rocsparseL17kernel_correctionILi1024ELi4E21rocsparse_complex_numIdEiiEEvT3_T2_PKS4_S6_PKS3_PKT1_21rocsparse_index_base_S6_S6_S8_SB_PS9_SC_S6_S6_S8_SB_SD_SC_SB_SD_.uses_vcc, 1
	.set _ZN9rocsparseL17kernel_correctionILi1024ELi4E21rocsparse_complex_numIdEiiEEvT3_T2_PKS4_S6_PKS3_PKT1_21rocsparse_index_base_S6_S6_S8_SB_PS9_SC_S6_S6_S8_SB_SD_SC_SB_SD_.uses_flat_scratch, 0
	.set _ZN9rocsparseL17kernel_correctionILi1024ELi4E21rocsparse_complex_numIdEiiEEvT3_T2_PKS4_S6_PKS3_PKT1_21rocsparse_index_base_S6_S6_S8_SB_PS9_SC_S6_S6_S8_SB_SD_SC_SB_SD_.has_dyn_sized_stack, 0
	.set _ZN9rocsparseL17kernel_correctionILi1024ELi4E21rocsparse_complex_numIdEiiEEvT3_T2_PKS4_S6_PKS3_PKT1_21rocsparse_index_base_S6_S6_S8_SB_PS9_SC_S6_S6_S8_SB_SD_SC_SB_SD_.has_recursion, 0
	.set _ZN9rocsparseL17kernel_correctionILi1024ELi4E21rocsparse_complex_numIdEiiEEvT3_T2_PKS4_S6_PKS3_PKT1_21rocsparse_index_base_S6_S6_S8_SB_PS9_SC_S6_S6_S8_SB_SD_SC_SB_SD_.has_indirect_call, 0
	.section	.AMDGPU.csdata,"",@progbits
; Kernel info:
; codeLenInByte = 2620
; TotalNumSgprs: 55
; NumVgprs: 37
; ScratchSize: 0
; MemoryBound: 1
; FloatMode: 240
; IeeeMode: 1
; LDSByteSize: 0 bytes/workgroup (compile time only)
; SGPRBlocks: 0
; VGPRBlocks: 4
; NumSGPRsForWavesPerEU: 55
; NumVGPRsForWavesPerEU: 37
; Occupancy: 16
; WaveLimiterHint : 1
; COMPUTE_PGM_RSRC2:SCRATCH_EN: 0
; COMPUTE_PGM_RSRC2:USER_SGPR: 6
; COMPUTE_PGM_RSRC2:TRAP_HANDLER: 0
; COMPUTE_PGM_RSRC2:TGID_X_EN: 1
; COMPUTE_PGM_RSRC2:TGID_Y_EN: 0
; COMPUTE_PGM_RSRC2:TGID_Z_EN: 0
; COMPUTE_PGM_RSRC2:TIDIG_COMP_CNT: 0
	.section	.text._ZN9rocsparseL17kernel_correctionILi1024ELi8E21rocsparse_complex_numIdEiiEEvT3_T2_PKS4_S6_PKS3_PKT1_21rocsparse_index_base_S6_S6_S8_SB_PS9_SC_S6_S6_S8_SB_SD_SC_SB_SD_,"axG",@progbits,_ZN9rocsparseL17kernel_correctionILi1024ELi8E21rocsparse_complex_numIdEiiEEvT3_T2_PKS4_S6_PKS3_PKT1_21rocsparse_index_base_S6_S6_S8_SB_PS9_SC_S6_S6_S8_SB_SD_SC_SB_SD_,comdat
	.globl	_ZN9rocsparseL17kernel_correctionILi1024ELi8E21rocsparse_complex_numIdEiiEEvT3_T2_PKS4_S6_PKS3_PKT1_21rocsparse_index_base_S6_S6_S8_SB_PS9_SC_S6_S6_S8_SB_SD_SC_SB_SD_ ; -- Begin function _ZN9rocsparseL17kernel_correctionILi1024ELi8E21rocsparse_complex_numIdEiiEEvT3_T2_PKS4_S6_PKS3_PKT1_21rocsparse_index_base_S6_S6_S8_SB_PS9_SC_S6_S6_S8_SB_SD_SC_SB_SD_
	.p2align	8
	.type	_ZN9rocsparseL17kernel_correctionILi1024ELi8E21rocsparse_complex_numIdEiiEEvT3_T2_PKS4_S6_PKS3_PKT1_21rocsparse_index_base_S6_S6_S8_SB_PS9_SC_S6_S6_S8_SB_SD_SC_SB_SD_,@function
_ZN9rocsparseL17kernel_correctionILi1024ELi8E21rocsparse_complex_numIdEiiEEvT3_T2_PKS4_S6_PKS3_PKT1_21rocsparse_index_base_S6_S6_S8_SB_PS9_SC_S6_S6_S8_SB_SD_SC_SB_SD_: ; @_ZN9rocsparseL17kernel_correctionILi1024ELi8E21rocsparse_complex_numIdEiiEEvT3_T2_PKS4_S6_PKS3_PKT1_21rocsparse_index_base_S6_S6_S8_SB_PS9_SC_S6_S6_S8_SB_SD_SC_SB_SD_
; %bb.0:
	s_load_dword s33, s[4:5], 0x0
	v_lshrrev_b32_e32 v1, 3, v0
	s_lshl_b32 s34, s6, 10
	s_mov_b32 s0, exec_lo
	v_or_b32_e32 v1, s34, v1
	s_waitcnt lgkmcnt(0)
	v_cmpx_gt_i32_e64 s33, v1
	s_cbranch_execz .LBB45_51
; %bb.1:
	s_addk_i32 s34, 0x400
	v_cmp_gt_u32_e32 vcc_lo, s34, v1
	s_and_b32 exec_lo, exec_lo, vcc_lo
	s_cbranch_execz .LBB45_51
; %bb.2:
	s_clause 0x8
	s_load_dwordx4 s[36:39], s[4:5], 0x90
	s_load_dwordx8 s[8:15], s[4:5], 0x60
	s_load_dword s35, s[4:5], 0x28
	s_load_dwordx8 s[16:23], s[4:5], 0x30
	s_load_dwordx8 s[24:31], s[4:5], 0x8
	s_load_dwordx2 s[2:3], s[4:5], 0x50
	s_load_dword s40, s[4:5], 0x58
	s_load_dwordx2 s[6:7], s[4:5], 0x80
	s_load_dword s4, s[4:5], 0x88
	v_and_b32_e32 v0, 7, v0
	v_mov_b32_e32 v3, 0
	s_mov_b32 s5, 0
	s_waitcnt lgkmcnt(0)
	v_subrev_nc_u32_e32 v0, s35, v0
	s_branch .LBB45_4
.LBB45_3:                               ;   in Loop: Header=BB45_4 Depth=1
	s_or_b32 exec_lo, exec_lo, s41
	v_add_nc_u32_e32 v1, 0x80, v1
	v_cmp_le_u32_e32 vcc_lo, s34, v1
	s_or_b32 s5, vcc_lo, s5
	s_andn2_b32 exec_lo, exec_lo, s5
	s_cbranch_execz .LBB45_51
.LBB45_4:                               ; =>This Loop Header: Depth=1
                                        ;     Child Loop BB45_8 Depth 2
                                        ;       Child Loop BB45_12 Depth 3
                                        ;       Child Loop BB45_34 Depth 3
	;; [unrolled: 1-line block ×3, first 2 shown]
	s_mov_b32 s41, exec_lo
	v_cmpx_gt_i32_e64 s33, v1
	s_cbranch_execz .LBB45_3
; %bb.5:                                ;   in Loop: Header=BB45_4 Depth=1
	v_ashrrev_i32_e32 v2, 31, v1
	v_lshlrev_b64 v[5:6], 2, v[1:2]
	v_add_co_u32 v7, vcc_lo, s24, v5
	v_add_co_ci_u32_e64 v8, null, s25, v6, vcc_lo
	v_add_co_u32 v9, vcc_lo, s26, v5
	v_add_co_ci_u32_e64 v10, null, s27, v6, vcc_lo
	global_load_dword v2, v[7:8], off
	global_load_dword v7, v[9:10], off
	s_waitcnt vmcnt(1)
	v_add_nc_u32_e32 v4, v0, v2
	s_waitcnt vmcnt(0)
	v_subrev_nc_u32_e32 v21, s35, v7
	v_cmp_lt_i32_e32 vcc_lo, v4, v21
	s_and_b32 exec_lo, exec_lo, vcc_lo
	s_cbranch_execz .LBB45_3
; %bb.6:                                ;   in Loop: Header=BB45_4 Depth=1
	v_add_co_u32 v7, vcc_lo, s16, v5
	v_add_co_ci_u32_e64 v8, null, s17, v6, vcc_lo
	v_add_co_u32 v5, vcc_lo, s18, v5
	v_add_co_ci_u32_e64 v6, null, s19, v6, vcc_lo
	global_load_dword v2, v[7:8], off
	s_mov_b32 s42, 0
	global_load_dword v5, v[5:6], off
	s_waitcnt vmcnt(1)
	v_subrev_nc_u32_e32 v6, s40, v2
	s_waitcnt vmcnt(0)
	v_sub_nc_u32_e32 v22, v5, v2
	v_ashrrev_i32_e32 v7, 31, v6
	v_cmp_lt_i32_e64 s0, 0, v22
	v_lshlrev_b64 v[8:9], 2, v[6:7]
	v_lshlrev_b64 v[10:11], 4, v[6:7]
	v_add_co_u32 v23, vcc_lo, s20, v8
	v_add_co_ci_u32_e64 v24, null, s21, v9, vcc_lo
	v_add_co_u32 v25, vcc_lo, s22, v10
	v_add_co_ci_u32_e64 v26, null, s23, v11, vcc_lo
	s_branch .LBB45_8
.LBB45_7:                               ;   in Loop: Header=BB45_8 Depth=2
	s_or_b32 exec_lo, exec_lo, s43
	v_add_nc_u32_e32 v4, 8, v4
	v_cmp_ge_i32_e32 vcc_lo, v4, v21
	s_or_b32 s42, vcc_lo, s42
	s_andn2_b32 exec_lo, exec_lo, s42
	s_cbranch_execz .LBB45_3
.LBB45_8:                               ;   Parent Loop BB45_4 Depth=1
                                        ; =>  This Loop Header: Depth=2
                                        ;       Child Loop BB45_12 Depth 3
                                        ;       Child Loop BB45_34 Depth 3
	;; [unrolled: 1-line block ×3, first 2 shown]
	v_ashrrev_i32_e32 v5, 31, v4
	v_mov_b32_e32 v15, 0
	v_mov_b32_e32 v16, 0
	v_lshlrev_b64 v[7:8], 2, v[4:5]
	v_add_co_u32 v7, vcc_lo, s28, v7
	v_add_co_ci_u32_e64 v8, null, s29, v8, vcc_lo
	global_load_dword v2, v[7:8], off
	s_waitcnt vmcnt(0)
	v_subrev_nc_u32_e32 v7, s35, v2
	v_mov_b32_e32 v2, 0
	v_ashrrev_i32_e32 v8, 31, v7
	v_lshlrev_b64 v[9:10], 2, v[7:8]
	v_add_co_u32 v11, vcc_lo, s8, v9
	v_add_co_ci_u32_e64 v12, null, s9, v10, vcc_lo
	v_add_co_u32 v9, vcc_lo, s10, v9
	v_add_co_ci_u32_e64 v10, null, s11, v10, vcc_lo
	global_load_dword v12, v[11:12], off
	global_load_dword v13, v[9:10], off
	v_mov_b32_e32 v9, 0
	v_mov_b32_e32 v10, 0
	s_waitcnt vmcnt(1)
	v_subrev_nc_u32_e32 v11, s4, v12
	s_waitcnt vmcnt(0)
	v_sub_nc_u32_e32 v27, v13, v12
	v_mov_b32_e32 v12, v2
	s_and_saveexec_b32 s43, s0
	s_cbranch_execz .LBB45_16
; %bb.9:                                ;   in Loop: Header=BB45_8 Depth=2
	v_ashrrev_i32_e32 v12, 31, v11
	v_mov_b32_e32 v9, 0
	v_mov_b32_e32 v10, 0
	;; [unrolled: 1-line block ×3, first 2 shown]
	s_mov_b32 s44, 0
	v_lshlrev_b64 v[14:15], 2, v[11:12]
	v_lshlrev_b64 v[12:13], 4, v[11:12]
                                        ; implicit-def: $sgpr45
	v_add_co_u32 v14, vcc_lo, s12, v14
	v_add_co_ci_u32_e64 v17, null, s13, v15, vcc_lo
	v_add_co_u32 v18, vcc_lo, s14, v12
	v_mov_b32_e32 v15, 0
	v_add_co_ci_u32_e64 v19, null, s15, v13, vcc_lo
	v_mov_b32_e32 v12, 0
	v_mov_b32_e32 v16, 0
	s_branch .LBB45_12
.LBB45_10:                              ;   in Loop: Header=BB45_12 Depth=3
	s_or_b32 exec_lo, exec_lo, s1
	v_cmp_le_i32_e32 vcc_lo, v20, v28
	v_cmp_ge_i32_e64 s1, v20, v28
	v_add_co_ci_u32_e64 v2, null, 0, v2, vcc_lo
	v_add_co_ci_u32_e64 v12, null, 0, v12, s1
	s_andn2_b32 s1, s45, exec_lo
	v_cmp_ge_i32_e32 vcc_lo, v2, v22
	s_and_b32 s45, vcc_lo, exec_lo
	s_or_b32 s45, s1, s45
.LBB45_11:                              ;   in Loop: Header=BB45_12 Depth=3
	s_or_b32 exec_lo, exec_lo, s46
	s_and_b32 s1, exec_lo, s45
	s_or_b32 s44, s1, s44
	s_andn2_b32 exec_lo, exec_lo, s44
	s_cbranch_execz .LBB45_15
.LBB45_12:                              ;   Parent Loop BB45_4 Depth=1
                                        ;     Parent Loop BB45_8 Depth=2
                                        ; =>    This Inner Loop Header: Depth=3
	s_or_b32 s45, s45, exec_lo
	s_mov_b32 s46, exec_lo
	v_cmpx_lt_i32_e64 v12, v27
	s_cbranch_execz .LBB45_11
; %bb.13:                               ;   in Loop: Header=BB45_12 Depth=3
	v_mov_b32_e32 v13, v3
	v_lshlrev_b64 v[28:29], 2, v[2:3]
	s_mov_b32 s1, exec_lo
	v_lshlrev_b64 v[30:31], 2, v[12:13]
	v_add_co_u32 v28, vcc_lo, v23, v28
	v_add_co_ci_u32_e64 v29, null, v24, v29, vcc_lo
	v_add_co_u32 v30, vcc_lo, v14, v30
	v_add_co_ci_u32_e64 v31, null, v17, v31, vcc_lo
	global_load_dword v20, v[28:29], off
	global_load_dword v28, v[30:31], off
	s_waitcnt vmcnt(1)
	v_subrev_nc_u32_e32 v20, s40, v20
	s_waitcnt vmcnt(0)
	v_subrev_nc_u32_e32 v28, s4, v28
	v_cmpx_eq_u32_e64 v20, v28
	s_cbranch_execz .LBB45_10
; %bb.14:                               ;   in Loop: Header=BB45_12 Depth=3
	v_lshlrev_b64 v[29:30], 4, v[2:3]
	v_lshlrev_b64 v[31:32], 4, v[12:13]
	v_add_co_u32 v29, vcc_lo, v25, v29
	v_add_co_ci_u32_e64 v30, null, v26, v30, vcc_lo
	v_add_co_u32 v33, vcc_lo, v18, v31
	v_add_co_ci_u32_e64 v34, null, v19, v32, vcc_lo
	global_load_dwordx4 v[29:32], v[29:30], off
	global_load_dwordx4 v[33:36], v[33:34], off
	s_waitcnt vmcnt(0)
	v_fma_f64 v[9:10], v[29:30], v[33:34], v[9:10]
	v_fma_f64 v[15:16], v[31:32], v[33:34], v[15:16]
	v_fma_f64 v[9:10], -v[31:32], v[35:36], v[9:10]
	v_fma_f64 v[15:16], v[29:30], v[35:36], v[15:16]
	s_branch .LBB45_10
.LBB45_15:                              ;   in Loop: Header=BB45_8 Depth=2
	s_or_b32 exec_lo, exec_lo, s44
.LBB45_16:                              ;   in Loop: Header=BB45_8 Depth=2
	s_or_b32 exec_lo, exec_lo, s43
	v_lshlrev_b64 v[13:14], 4, v[4:5]
	v_cmp_le_i32_e64 s1, v1, v7
	s_mov_b32 s43, exec_lo
	v_add_co_u32 v13, vcc_lo, s30, v13
	v_add_co_ci_u32_e64 v14, null, s31, v14, vcc_lo
	global_load_dwordx4 v[17:20], v[13:14], off
	s_waitcnt vmcnt(0)
	v_add_f64 v[13:14], v[17:18], -v[9:10]
	v_add_f64 v[9:10], v[19:20], -v[15:16]
	v_cmpx_gt_i32_e64 v1, v7
	s_cbranch_execz .LBB45_18
; %bb.17:                               ;   in Loop: Header=BB45_8 Depth=2
	v_lshlrev_b64 v[15:16], 4, v[7:8]
	v_add_co_u32 v15, vcc_lo, s36, v15
	v_add_co_ci_u32_e64 v16, null, s37, v16, vcc_lo
	global_load_dwordx4 v[15:18], v[15:16], off
	s_waitcnt vmcnt(0)
	v_mul_f64 v[19:20], v[17:18], v[17:18]
	v_fma_f64 v[19:20], v[15:16], v[15:16], v[19:20]
	v_div_scale_f64 v[28:29], null, v[19:20], v[19:20], 1.0
	v_div_scale_f64 v[34:35], vcc_lo, 1.0, v[19:20], 1.0
	v_rcp_f64_e32 v[30:31], v[28:29]
	v_fma_f64 v[32:33], -v[28:29], v[30:31], 1.0
	v_fma_f64 v[30:31], v[30:31], v[32:33], v[30:31]
	v_fma_f64 v[32:33], -v[28:29], v[30:31], 1.0
	v_fma_f64 v[30:31], v[30:31], v[32:33], v[30:31]
	v_mul_f64 v[32:33], v[34:35], v[30:31]
	v_fma_f64 v[28:29], -v[28:29], v[32:33], v[34:35]
	v_div_fmas_f64 v[28:29], v[28:29], v[30:31], v[32:33]
	v_mul_f64 v[30:31], v[9:10], v[17:18]
	v_mul_f64 v[17:18], v[17:18], -v[13:14]
	v_div_fixup_f64 v[19:20], v[28:29], v[19:20], 1.0
	v_fma_f64 v[13:14], v[13:14], v[15:16], v[30:31]
	v_fma_f64 v[9:10], v[9:10], v[15:16], v[17:18]
	v_mul_f64 v[13:14], v[13:14], v[19:20]
	v_mul_f64 v[9:10], v[9:10], v[19:20]
.LBB45_18:                              ;   in Loop: Header=BB45_8 Depth=2
	s_or_b32 exec_lo, exec_lo, s43
	v_cmp_gt_f64_e32 vcc_lo, 0, v[13:14]
	v_xor_b32_e32 v5, 0x80000000, v14
	v_xor_b32_e32 v17, 0x80000000, v10
	v_mov_b32_e32 v15, v13
	s_mov_b32 s43, exec_lo
                                        ; implicit-def: $vgpr19_vgpr20
	v_cndmask_b32_e32 v16, v14, v5, vcc_lo
	v_cmp_gt_f64_e32 vcc_lo, 0, v[9:10]
	v_cndmask_b32_e32 v18, v10, v17, vcc_lo
	v_mov_b32_e32 v17, v9
	v_cmpx_ngt_f64_e32 v[15:16], v[17:18]
	s_xor_b32 s43, exec_lo, s43
	s_cbranch_execnz .LBB45_21
; %bb.19:                               ;   in Loop: Header=BB45_8 Depth=2
	s_andn2_saveexec_b32 s43, s43
	s_cbranch_execnz .LBB45_24
.LBB45_20:                              ;   in Loop: Header=BB45_8 Depth=2
	s_or_b32 exec_lo, exec_lo, s43
	v_cmp_class_f64_e64 s44, v[19:20], 0x1f8
	s_and_saveexec_b32 s43, s44
	s_cbranch_execz .LBB45_7
	s_branch .LBB45_25
.LBB45_21:                              ;   in Loop: Header=BB45_8 Depth=2
	v_mov_b32_e32 v19, 0
	v_mov_b32_e32 v20, 0
	s_mov_b32 s44, exec_lo
	v_cmpx_neq_f64_e32 0, v[9:10]
	s_cbranch_execz .LBB45_23
; %bb.22:                               ;   in Loop: Header=BB45_8 Depth=2
	v_div_scale_f64 v[19:20], null, v[17:18], v[17:18], v[15:16]
	v_div_scale_f64 v[32:33], vcc_lo, v[15:16], v[17:18], v[15:16]
	v_rcp_f64_e32 v[28:29], v[19:20]
	v_fma_f64 v[30:31], -v[19:20], v[28:29], 1.0
	v_fma_f64 v[28:29], v[28:29], v[30:31], v[28:29]
	v_fma_f64 v[30:31], -v[19:20], v[28:29], 1.0
	v_fma_f64 v[28:29], v[28:29], v[30:31], v[28:29]
	v_mul_f64 v[30:31], v[32:33], v[28:29]
	v_fma_f64 v[19:20], -v[19:20], v[30:31], v[32:33]
	v_div_fmas_f64 v[19:20], v[19:20], v[28:29], v[30:31]
	v_div_fixup_f64 v[15:16], v[19:20], v[17:18], v[15:16]
	v_fma_f64 v[15:16], v[15:16], v[15:16], 1.0
	v_cmp_gt_f64_e32 vcc_lo, 0x10000000, v[15:16]
	v_cndmask_b32_e64 v5, 0, 0x100, vcc_lo
	v_ldexp_f64 v[15:16], v[15:16], v5
	v_cndmask_b32_e64 v5, 0, 0xffffff80, vcc_lo
	v_rsq_f64_e32 v[19:20], v[15:16]
	v_cmp_class_f64_e64 vcc_lo, v[15:16], 0x260
	v_mul_f64 v[28:29], v[15:16], v[19:20]
	v_mul_f64 v[19:20], v[19:20], 0.5
	v_fma_f64 v[30:31], -v[19:20], v[28:29], 0.5
	v_fma_f64 v[28:29], v[28:29], v[30:31], v[28:29]
	v_fma_f64 v[19:20], v[19:20], v[30:31], v[19:20]
	v_fma_f64 v[30:31], -v[28:29], v[28:29], v[15:16]
	v_fma_f64 v[28:29], v[30:31], v[19:20], v[28:29]
	v_fma_f64 v[30:31], -v[28:29], v[28:29], v[15:16]
	v_fma_f64 v[19:20], v[30:31], v[19:20], v[28:29]
	v_ldexp_f64 v[19:20], v[19:20], v5
	v_cndmask_b32_e32 v16, v20, v16, vcc_lo
	v_cndmask_b32_e32 v15, v19, v15, vcc_lo
	v_mul_f64 v[19:20], v[17:18], v[15:16]
.LBB45_23:                              ;   in Loop: Header=BB45_8 Depth=2
	s_or_b32 exec_lo, exec_lo, s44
                                        ; implicit-def: $vgpr15_vgpr16
                                        ; implicit-def: $vgpr17_vgpr18
	s_andn2_saveexec_b32 s43, s43
	s_cbranch_execz .LBB45_20
.LBB45_24:                              ;   in Loop: Header=BB45_8 Depth=2
	v_div_scale_f64 v[19:20], null, v[15:16], v[15:16], v[17:18]
	v_div_scale_f64 v[32:33], vcc_lo, v[17:18], v[15:16], v[17:18]
	v_rcp_f64_e32 v[28:29], v[19:20]
	v_fma_f64 v[30:31], -v[19:20], v[28:29], 1.0
	v_fma_f64 v[28:29], v[28:29], v[30:31], v[28:29]
	v_fma_f64 v[30:31], -v[19:20], v[28:29], 1.0
	v_fma_f64 v[28:29], v[28:29], v[30:31], v[28:29]
	v_mul_f64 v[30:31], v[32:33], v[28:29]
	v_fma_f64 v[19:20], -v[19:20], v[30:31], v[32:33]
	v_div_fmas_f64 v[19:20], v[19:20], v[28:29], v[30:31]
	v_div_fixup_f64 v[17:18], v[19:20], v[15:16], v[17:18]
	v_fma_f64 v[17:18], v[17:18], v[17:18], 1.0
	v_cmp_gt_f64_e32 vcc_lo, 0x10000000, v[17:18]
	v_cndmask_b32_e64 v5, 0, 0x100, vcc_lo
	v_ldexp_f64 v[17:18], v[17:18], v5
	v_cndmask_b32_e64 v5, 0, 0xffffff80, vcc_lo
	v_rsq_f64_e32 v[19:20], v[17:18]
	v_cmp_class_f64_e64 vcc_lo, v[17:18], 0x260
	v_mul_f64 v[28:29], v[17:18], v[19:20]
	v_mul_f64 v[19:20], v[19:20], 0.5
	v_fma_f64 v[30:31], -v[19:20], v[28:29], 0.5
	v_fma_f64 v[28:29], v[28:29], v[30:31], v[28:29]
	v_fma_f64 v[19:20], v[19:20], v[30:31], v[19:20]
	v_fma_f64 v[30:31], -v[28:29], v[28:29], v[17:18]
	v_fma_f64 v[28:29], v[30:31], v[19:20], v[28:29]
	v_fma_f64 v[30:31], -v[28:29], v[28:29], v[17:18]
	v_fma_f64 v[19:20], v[30:31], v[19:20], v[28:29]
	v_ldexp_f64 v[19:20], v[19:20], v5
	v_cndmask_b32_e32 v18, v20, v18, vcc_lo
	v_cndmask_b32_e32 v17, v19, v17, vcc_lo
	v_mul_f64 v[19:20], v[15:16], v[17:18]
	s_or_b32 exec_lo, exec_lo, s43
	v_cmp_class_f64_e64 s44, v[19:20], 0x1f8
	s_and_saveexec_b32 s43, s44
	s_cbranch_execz .LBB45_7
.LBB45_25:                              ;   in Loop: Header=BB45_8 Depth=2
	s_mov_b32 s44, 0
                                        ; implicit-def: $vgpr15_vgpr16
	s_and_saveexec_b32 s45, s1
	s_xor_b32 s1, exec_lo, s45
	s_cbranch_execnz .LBB45_28
; %bb.26:                               ;   in Loop: Header=BB45_8 Depth=2
	s_andn2_saveexec_b32 s1, s1
	s_cbranch_execnz .LBB45_41
.LBB45_27:                              ;   in Loop: Header=BB45_8 Depth=2
	s_or_b32 exec_lo, exec_lo, s1
	s_and_b32 exec_lo, exec_lo, s44
	s_cbranch_execz .LBB45_7
	s_branch .LBB45_50
.LBB45_28:                              ;   in Loop: Header=BB45_8 Depth=2
	s_mov_b32 s45, exec_lo
                                        ; implicit-def: $vgpr15_vgpr16
	v_cmpx_ge_i32_e64 v1, v7
	s_xor_b32 s45, exec_lo, s45
	s_cbranch_execz .LBB45_30
; %bb.29:                               ;   in Loop: Header=BB45_8 Depth=2
	v_lshlrev_b64 v[7:8], 4, v[7:8]
	s_mov_b32 s44, exec_lo
                                        ; implicit-def: $vgpr12
                                        ; implicit-def: $vgpr27
                                        ; implicit-def: $vgpr11
	v_add_co_u32 v15, vcc_lo, s38, v7
	v_add_co_ci_u32_e64 v16, null, s39, v8, vcc_lo
	global_store_dwordx2 v[15:16], v[13:14], off
                                        ; implicit-def: $vgpr13_vgpr14
.LBB45_30:                              ;   in Loop: Header=BB45_8 Depth=2
	s_andn2_saveexec_b32 s45, s45
	s_cbranch_execz .LBB45_40
; %bb.31:                               ;   in Loop: Header=BB45_8 Depth=2
	s_mov_b32 s47, s44
	s_mov_b32 s46, exec_lo
                                        ; implicit-def: $vgpr15_vgpr16
	v_cmpx_lt_i32_e64 v12, v27
	s_cbranch_execz .LBB45_39
; %bb.32:                               ;   in Loop: Header=BB45_8 Depth=2
	s_mov_b32 s48, 0
                                        ; implicit-def: $sgpr47
                                        ; implicit-def: $sgpr50
                                        ; implicit-def: $sgpr49
	s_inst_prefetch 0x1
	s_branch .LBB45_34
	.p2align	6
.LBB45_33:                              ;   in Loop: Header=BB45_34 Depth=3
	s_or_b32 exec_lo, exec_lo, s51
	s_and_b32 s51, exec_lo, s50
	s_or_b32 s48, s51, s48
	s_andn2_b32 s47, s47, exec_lo
	s_and_b32 s51, s49, exec_lo
	s_or_b32 s47, s47, s51
	s_andn2_b32 exec_lo, exec_lo, s48
	s_cbranch_execz .LBB45_36
.LBB45_34:                              ;   Parent Loop BB45_4 Depth=1
                                        ;     Parent Loop BB45_8 Depth=2
                                        ; =>    This Inner Loop Header: Depth=3
	v_add_nc_u32_e32 v7, v11, v12
	s_or_b32 s49, s49, exec_lo
	s_or_b32 s50, s50, exec_lo
	s_mov_b32 s51, exec_lo
	v_ashrrev_i32_e32 v8, 31, v7
	v_lshlrev_b64 v[15:16], 2, v[7:8]
	v_add_co_u32 v15, vcc_lo, s12, v15
	v_add_co_ci_u32_e64 v16, null, s13, v16, vcc_lo
	global_load_dword v2, v[15:16], off
	s_waitcnt vmcnt(0)
	v_subrev_nc_u32_e32 v2, s4, v2
	v_cmpx_ne_u32_e64 v2, v1
	s_cbranch_execz .LBB45_33
; %bb.35:                               ;   in Loop: Header=BB45_34 Depth=3
	v_add_nc_u32_e32 v12, 1, v12
	s_andn2_b32 s50, s50, exec_lo
	s_andn2_b32 s49, s49, exec_lo
	v_cmp_ge_i32_e32 vcc_lo, v12, v27
	s_and_b32 s52, vcc_lo, exec_lo
	s_or_b32 s50, s50, s52
	s_branch .LBB45_33
.LBB45_36:                              ;   in Loop: Header=BB45_8 Depth=2
	s_inst_prefetch 0x2
	s_or_b32 exec_lo, exec_lo, s48
	s_mov_b32 s48, s44
                                        ; implicit-def: $vgpr15_vgpr16
	s_and_saveexec_b32 s49, s47
	s_xor_b32 s47, exec_lo, s49
	s_cbranch_execz .LBB45_38
; %bb.37:                               ;   in Loop: Header=BB45_8 Depth=2
	v_lshlrev_b64 v[7:8], 4, v[7:8]
	s_or_b32 s48, s44, exec_lo
	v_add_co_u32 v15, vcc_lo, s6, v7
	v_add_co_ci_u32_e64 v16, null, s7, v8, vcc_lo
	global_store_dwordx2 v[15:16], v[13:14], off
.LBB45_38:                              ;   in Loop: Header=BB45_8 Depth=2
	s_or_b32 exec_lo, exec_lo, s47
	s_andn2_b32 s47, s44, exec_lo
	s_and_b32 s48, s48, exec_lo
	s_or_b32 s47, s47, s48
.LBB45_39:                              ;   in Loop: Header=BB45_8 Depth=2
	s_or_b32 exec_lo, exec_lo, s46
	s_andn2_b32 s44, s44, exec_lo
	s_and_b32 s46, s47, exec_lo
	s_or_b32 s44, s44, s46
.LBB45_40:                              ;   in Loop: Header=BB45_8 Depth=2
	s_or_b32 exec_lo, exec_lo, s45
	s_and_b32 s44, s44, exec_lo
                                        ; implicit-def: $vgpr13_vgpr14
                                        ; implicit-def: $vgpr7_vgpr8
	s_andn2_saveexec_b32 s1, s1
	s_cbranch_execz .LBB45_27
.LBB45_41:                              ;   in Loop: Header=BB45_8 Depth=2
	s_mov_b32 s46, s44
	s_mov_b32 s45, exec_lo
                                        ; implicit-def: $vgpr15_vgpr16
	v_cmpx_lt_i32_e64 v2, v22
	s_cbranch_execz .LBB45_49
; %bb.42:                               ;   in Loop: Header=BB45_8 Depth=2
	s_mov_b32 s47, 0
                                        ; implicit-def: $sgpr46
                                        ; implicit-def: $sgpr49
                                        ; implicit-def: $sgpr48
	s_inst_prefetch 0x1
	s_branch .LBB45_44
	.p2align	6
.LBB45_43:                              ;   in Loop: Header=BB45_44 Depth=3
	s_or_b32 exec_lo, exec_lo, s50
	s_and_b32 s50, exec_lo, s49
	s_or_b32 s47, s50, s47
	s_andn2_b32 s46, s46, exec_lo
	s_and_b32 s50, s48, exec_lo
	s_or_b32 s46, s46, s50
	s_andn2_b32 exec_lo, exec_lo, s47
	s_cbranch_execz .LBB45_46
.LBB45_44:                              ;   Parent Loop BB45_4 Depth=1
                                        ;     Parent Loop BB45_8 Depth=2
                                        ; =>    This Inner Loop Header: Depth=3
	v_add_nc_u32_e32 v11, v6, v2
	s_or_b32 s48, s48, exec_lo
	s_or_b32 s49, s49, exec_lo
	s_mov_b32 s50, exec_lo
	v_ashrrev_i32_e32 v12, 31, v11
	v_lshlrev_b64 v[15:16], 2, v[11:12]
	v_add_co_u32 v15, vcc_lo, s20, v15
	v_add_co_ci_u32_e64 v16, null, s21, v16, vcc_lo
	global_load_dword v5, v[15:16], off
	s_waitcnt vmcnt(0)
	v_subrev_nc_u32_e32 v5, s40, v5
	v_cmpx_ne_u32_e64 v5, v7
	s_cbranch_execz .LBB45_43
; %bb.45:                               ;   in Loop: Header=BB45_44 Depth=3
	v_add_nc_u32_e32 v2, 1, v2
	s_andn2_b32 s49, s49, exec_lo
	s_andn2_b32 s48, s48, exec_lo
	v_cmp_ge_i32_e32 vcc_lo, v2, v22
	s_and_b32 s51, vcc_lo, exec_lo
	s_or_b32 s49, s49, s51
	s_branch .LBB45_43
.LBB45_46:                              ;   in Loop: Header=BB45_8 Depth=2
	s_inst_prefetch 0x2
	s_or_b32 exec_lo, exec_lo, s47
	s_mov_b32 s47, s44
                                        ; implicit-def: $vgpr15_vgpr16
	s_and_saveexec_b32 s48, s46
	s_xor_b32 s46, exec_lo, s48
	s_cbranch_execz .LBB45_48
; %bb.47:                               ;   in Loop: Header=BB45_8 Depth=2
	v_lshlrev_b64 v[7:8], 4, v[11:12]
	s_or_b32 s47, s44, exec_lo
	v_add_co_u32 v15, vcc_lo, s2, v7
	v_add_co_ci_u32_e64 v16, null, s3, v8, vcc_lo
	global_store_dwordx2 v[15:16], v[13:14], off
.LBB45_48:                              ;   in Loop: Header=BB45_8 Depth=2
	s_or_b32 exec_lo, exec_lo, s46
	s_andn2_b32 s46, s44, exec_lo
	s_and_b32 s47, s47, exec_lo
	s_or_b32 s46, s46, s47
.LBB45_49:                              ;   in Loop: Header=BB45_8 Depth=2
	s_or_b32 exec_lo, exec_lo, s45
	s_andn2_b32 s44, s44, exec_lo
	s_and_b32 s45, s46, exec_lo
	s_or_b32 s44, s44, s45
	s_or_b32 exec_lo, exec_lo, s1
	s_and_b32 exec_lo, exec_lo, s44
	s_cbranch_execz .LBB45_7
.LBB45_50:                              ;   in Loop: Header=BB45_8 Depth=2
	global_store_dwordx2 v[15:16], v[9:10], off offset:8
	s_branch .LBB45_7
.LBB45_51:
	s_endpgm
	.section	.rodata,"a",@progbits
	.p2align	6, 0x0
	.amdhsa_kernel _ZN9rocsparseL17kernel_correctionILi1024ELi8E21rocsparse_complex_numIdEiiEEvT3_T2_PKS4_S6_PKS3_PKT1_21rocsparse_index_base_S6_S6_S8_SB_PS9_SC_S6_S6_S8_SB_SD_SC_SB_SD_
		.amdhsa_group_segment_fixed_size 0
		.amdhsa_private_segment_fixed_size 0
		.amdhsa_kernarg_size 160
		.amdhsa_user_sgpr_count 6
		.amdhsa_user_sgpr_private_segment_buffer 1
		.amdhsa_user_sgpr_dispatch_ptr 0
		.amdhsa_user_sgpr_queue_ptr 0
		.amdhsa_user_sgpr_kernarg_segment_ptr 1
		.amdhsa_user_sgpr_dispatch_id 0
		.amdhsa_user_sgpr_flat_scratch_init 0
		.amdhsa_user_sgpr_private_segment_size 0
		.amdhsa_wavefront_size32 1
		.amdhsa_uses_dynamic_stack 0
		.amdhsa_system_sgpr_private_segment_wavefront_offset 0
		.amdhsa_system_sgpr_workgroup_id_x 1
		.amdhsa_system_sgpr_workgroup_id_y 0
		.amdhsa_system_sgpr_workgroup_id_z 0
		.amdhsa_system_sgpr_workgroup_info 0
		.amdhsa_system_vgpr_workitem_id 0
		.amdhsa_next_free_vgpr 37
		.amdhsa_next_free_sgpr 53
		.amdhsa_reserve_vcc 1
		.amdhsa_reserve_flat_scratch 0
		.amdhsa_float_round_mode_32 0
		.amdhsa_float_round_mode_16_64 0
		.amdhsa_float_denorm_mode_32 3
		.amdhsa_float_denorm_mode_16_64 3
		.amdhsa_dx10_clamp 1
		.amdhsa_ieee_mode 1
		.amdhsa_fp16_overflow 0
		.amdhsa_workgroup_processor_mode 1
		.amdhsa_memory_ordered 1
		.amdhsa_forward_progress 1
		.amdhsa_shared_vgpr_count 0
		.amdhsa_exception_fp_ieee_invalid_op 0
		.amdhsa_exception_fp_denorm_src 0
		.amdhsa_exception_fp_ieee_div_zero 0
		.amdhsa_exception_fp_ieee_overflow 0
		.amdhsa_exception_fp_ieee_underflow 0
		.amdhsa_exception_fp_ieee_inexact 0
		.amdhsa_exception_int_div_zero 0
	.end_amdhsa_kernel
	.section	.text._ZN9rocsparseL17kernel_correctionILi1024ELi8E21rocsparse_complex_numIdEiiEEvT3_T2_PKS4_S6_PKS3_PKT1_21rocsparse_index_base_S6_S6_S8_SB_PS9_SC_S6_S6_S8_SB_SD_SC_SB_SD_,"axG",@progbits,_ZN9rocsparseL17kernel_correctionILi1024ELi8E21rocsparse_complex_numIdEiiEEvT3_T2_PKS4_S6_PKS3_PKT1_21rocsparse_index_base_S6_S6_S8_SB_PS9_SC_S6_S6_S8_SB_SD_SC_SB_SD_,comdat
.Lfunc_end45:
	.size	_ZN9rocsparseL17kernel_correctionILi1024ELi8E21rocsparse_complex_numIdEiiEEvT3_T2_PKS4_S6_PKS3_PKT1_21rocsparse_index_base_S6_S6_S8_SB_PS9_SC_S6_S6_S8_SB_SD_SC_SB_SD_, .Lfunc_end45-_ZN9rocsparseL17kernel_correctionILi1024ELi8E21rocsparse_complex_numIdEiiEEvT3_T2_PKS4_S6_PKS3_PKT1_21rocsparse_index_base_S6_S6_S8_SB_PS9_SC_S6_S6_S8_SB_SD_SC_SB_SD_
                                        ; -- End function
	.set _ZN9rocsparseL17kernel_correctionILi1024ELi8E21rocsparse_complex_numIdEiiEEvT3_T2_PKS4_S6_PKS3_PKT1_21rocsparse_index_base_S6_S6_S8_SB_PS9_SC_S6_S6_S8_SB_SD_SC_SB_SD_.num_vgpr, 37
	.set _ZN9rocsparseL17kernel_correctionILi1024ELi8E21rocsparse_complex_numIdEiiEEvT3_T2_PKS4_S6_PKS3_PKT1_21rocsparse_index_base_S6_S6_S8_SB_PS9_SC_S6_S6_S8_SB_SD_SC_SB_SD_.num_agpr, 0
	.set _ZN9rocsparseL17kernel_correctionILi1024ELi8E21rocsparse_complex_numIdEiiEEvT3_T2_PKS4_S6_PKS3_PKT1_21rocsparse_index_base_S6_S6_S8_SB_PS9_SC_S6_S6_S8_SB_SD_SC_SB_SD_.numbered_sgpr, 53
	.set _ZN9rocsparseL17kernel_correctionILi1024ELi8E21rocsparse_complex_numIdEiiEEvT3_T2_PKS4_S6_PKS3_PKT1_21rocsparse_index_base_S6_S6_S8_SB_PS9_SC_S6_S6_S8_SB_SD_SC_SB_SD_.num_named_barrier, 0
	.set _ZN9rocsparseL17kernel_correctionILi1024ELi8E21rocsparse_complex_numIdEiiEEvT3_T2_PKS4_S6_PKS3_PKT1_21rocsparse_index_base_S6_S6_S8_SB_PS9_SC_S6_S6_S8_SB_SD_SC_SB_SD_.private_seg_size, 0
	.set _ZN9rocsparseL17kernel_correctionILi1024ELi8E21rocsparse_complex_numIdEiiEEvT3_T2_PKS4_S6_PKS3_PKT1_21rocsparse_index_base_S6_S6_S8_SB_PS9_SC_S6_S6_S8_SB_SD_SC_SB_SD_.uses_vcc, 1
	.set _ZN9rocsparseL17kernel_correctionILi1024ELi8E21rocsparse_complex_numIdEiiEEvT3_T2_PKS4_S6_PKS3_PKT1_21rocsparse_index_base_S6_S6_S8_SB_PS9_SC_S6_S6_S8_SB_SD_SC_SB_SD_.uses_flat_scratch, 0
	.set _ZN9rocsparseL17kernel_correctionILi1024ELi8E21rocsparse_complex_numIdEiiEEvT3_T2_PKS4_S6_PKS3_PKT1_21rocsparse_index_base_S6_S6_S8_SB_PS9_SC_S6_S6_S8_SB_SD_SC_SB_SD_.has_dyn_sized_stack, 0
	.set _ZN9rocsparseL17kernel_correctionILi1024ELi8E21rocsparse_complex_numIdEiiEEvT3_T2_PKS4_S6_PKS3_PKT1_21rocsparse_index_base_S6_S6_S8_SB_PS9_SC_S6_S6_S8_SB_SD_SC_SB_SD_.has_recursion, 0
	.set _ZN9rocsparseL17kernel_correctionILi1024ELi8E21rocsparse_complex_numIdEiiEEvT3_T2_PKS4_S6_PKS3_PKT1_21rocsparse_index_base_S6_S6_S8_SB_PS9_SC_S6_S6_S8_SB_SD_SC_SB_SD_.has_indirect_call, 0
	.section	.AMDGPU.csdata,"",@progbits
; Kernel info:
; codeLenInByte = 2620
; TotalNumSgprs: 55
; NumVgprs: 37
; ScratchSize: 0
; MemoryBound: 1
; FloatMode: 240
; IeeeMode: 1
; LDSByteSize: 0 bytes/workgroup (compile time only)
; SGPRBlocks: 0
; VGPRBlocks: 4
; NumSGPRsForWavesPerEU: 55
; NumVGPRsForWavesPerEU: 37
; Occupancy: 16
; WaveLimiterHint : 1
; COMPUTE_PGM_RSRC2:SCRATCH_EN: 0
; COMPUTE_PGM_RSRC2:USER_SGPR: 6
; COMPUTE_PGM_RSRC2:TRAP_HANDLER: 0
; COMPUTE_PGM_RSRC2:TGID_X_EN: 1
; COMPUTE_PGM_RSRC2:TGID_Y_EN: 0
; COMPUTE_PGM_RSRC2:TGID_Z_EN: 0
; COMPUTE_PGM_RSRC2:TIDIG_COMP_CNT: 0
	.section	.text._ZN9rocsparseL17kernel_correctionILi1024ELi16E21rocsparse_complex_numIdEiiEEvT3_T2_PKS4_S6_PKS3_PKT1_21rocsparse_index_base_S6_S6_S8_SB_PS9_SC_S6_S6_S8_SB_SD_SC_SB_SD_,"axG",@progbits,_ZN9rocsparseL17kernel_correctionILi1024ELi16E21rocsparse_complex_numIdEiiEEvT3_T2_PKS4_S6_PKS3_PKT1_21rocsparse_index_base_S6_S6_S8_SB_PS9_SC_S6_S6_S8_SB_SD_SC_SB_SD_,comdat
	.globl	_ZN9rocsparseL17kernel_correctionILi1024ELi16E21rocsparse_complex_numIdEiiEEvT3_T2_PKS4_S6_PKS3_PKT1_21rocsparse_index_base_S6_S6_S8_SB_PS9_SC_S6_S6_S8_SB_SD_SC_SB_SD_ ; -- Begin function _ZN9rocsparseL17kernel_correctionILi1024ELi16E21rocsparse_complex_numIdEiiEEvT3_T2_PKS4_S6_PKS3_PKT1_21rocsparse_index_base_S6_S6_S8_SB_PS9_SC_S6_S6_S8_SB_SD_SC_SB_SD_
	.p2align	8
	.type	_ZN9rocsparseL17kernel_correctionILi1024ELi16E21rocsparse_complex_numIdEiiEEvT3_T2_PKS4_S6_PKS3_PKT1_21rocsparse_index_base_S6_S6_S8_SB_PS9_SC_S6_S6_S8_SB_SD_SC_SB_SD_,@function
_ZN9rocsparseL17kernel_correctionILi1024ELi16E21rocsparse_complex_numIdEiiEEvT3_T2_PKS4_S6_PKS3_PKT1_21rocsparse_index_base_S6_S6_S8_SB_PS9_SC_S6_S6_S8_SB_SD_SC_SB_SD_: ; @_ZN9rocsparseL17kernel_correctionILi1024ELi16E21rocsparse_complex_numIdEiiEEvT3_T2_PKS4_S6_PKS3_PKT1_21rocsparse_index_base_S6_S6_S8_SB_PS9_SC_S6_S6_S8_SB_SD_SC_SB_SD_
; %bb.0:
	s_load_dword s33, s[4:5], 0x0
	v_lshrrev_b32_e32 v1, 4, v0
	s_lshl_b32 s34, s6, 10
	s_mov_b32 s0, exec_lo
	v_or_b32_e32 v1, s34, v1
	s_waitcnt lgkmcnt(0)
	v_cmpx_gt_i32_e64 s33, v1
	s_cbranch_execz .LBB46_51
; %bb.1:
	s_addk_i32 s34, 0x400
	v_cmp_gt_u32_e32 vcc_lo, s34, v1
	s_and_b32 exec_lo, exec_lo, vcc_lo
	s_cbranch_execz .LBB46_51
; %bb.2:
	s_clause 0x8
	s_load_dwordx4 s[36:39], s[4:5], 0x90
	s_load_dwordx8 s[8:15], s[4:5], 0x60
	s_load_dword s35, s[4:5], 0x28
	s_load_dwordx8 s[16:23], s[4:5], 0x30
	s_load_dwordx8 s[24:31], s[4:5], 0x8
	s_load_dwordx2 s[2:3], s[4:5], 0x50
	s_load_dword s40, s[4:5], 0x58
	s_load_dwordx2 s[6:7], s[4:5], 0x80
	s_load_dword s4, s[4:5], 0x88
	v_and_b32_e32 v0, 15, v0
	v_mov_b32_e32 v3, 0
	s_mov_b32 s5, 0
	s_waitcnt lgkmcnt(0)
	v_subrev_nc_u32_e32 v0, s35, v0
	s_branch .LBB46_4
.LBB46_3:                               ;   in Loop: Header=BB46_4 Depth=1
	s_or_b32 exec_lo, exec_lo, s41
	v_add_nc_u32_e32 v1, 64, v1
	v_cmp_le_u32_e32 vcc_lo, s34, v1
	s_or_b32 s5, vcc_lo, s5
	s_andn2_b32 exec_lo, exec_lo, s5
	s_cbranch_execz .LBB46_51
.LBB46_4:                               ; =>This Loop Header: Depth=1
                                        ;     Child Loop BB46_8 Depth 2
                                        ;       Child Loop BB46_12 Depth 3
                                        ;       Child Loop BB46_34 Depth 3
                                        ;       Child Loop BB46_44 Depth 3
	s_mov_b32 s41, exec_lo
	v_cmpx_gt_i32_e64 s33, v1
	s_cbranch_execz .LBB46_3
; %bb.5:                                ;   in Loop: Header=BB46_4 Depth=1
	v_ashrrev_i32_e32 v2, 31, v1
	v_lshlrev_b64 v[5:6], 2, v[1:2]
	v_add_co_u32 v7, vcc_lo, s24, v5
	v_add_co_ci_u32_e64 v8, null, s25, v6, vcc_lo
	v_add_co_u32 v9, vcc_lo, s26, v5
	v_add_co_ci_u32_e64 v10, null, s27, v6, vcc_lo
	global_load_dword v2, v[7:8], off
	global_load_dword v7, v[9:10], off
	s_waitcnt vmcnt(1)
	v_add_nc_u32_e32 v4, v0, v2
	s_waitcnt vmcnt(0)
	v_subrev_nc_u32_e32 v21, s35, v7
	v_cmp_lt_i32_e32 vcc_lo, v4, v21
	s_and_b32 exec_lo, exec_lo, vcc_lo
	s_cbranch_execz .LBB46_3
; %bb.6:                                ;   in Loop: Header=BB46_4 Depth=1
	v_add_co_u32 v7, vcc_lo, s16, v5
	v_add_co_ci_u32_e64 v8, null, s17, v6, vcc_lo
	v_add_co_u32 v5, vcc_lo, s18, v5
	v_add_co_ci_u32_e64 v6, null, s19, v6, vcc_lo
	global_load_dword v2, v[7:8], off
	s_mov_b32 s42, 0
	global_load_dword v5, v[5:6], off
	s_waitcnt vmcnt(1)
	v_subrev_nc_u32_e32 v6, s40, v2
	s_waitcnt vmcnt(0)
	v_sub_nc_u32_e32 v22, v5, v2
	v_ashrrev_i32_e32 v7, 31, v6
	v_cmp_lt_i32_e64 s0, 0, v22
	v_lshlrev_b64 v[8:9], 2, v[6:7]
	v_lshlrev_b64 v[10:11], 4, v[6:7]
	v_add_co_u32 v23, vcc_lo, s20, v8
	v_add_co_ci_u32_e64 v24, null, s21, v9, vcc_lo
	v_add_co_u32 v25, vcc_lo, s22, v10
	v_add_co_ci_u32_e64 v26, null, s23, v11, vcc_lo
	s_branch .LBB46_8
.LBB46_7:                               ;   in Loop: Header=BB46_8 Depth=2
	s_or_b32 exec_lo, exec_lo, s43
	v_add_nc_u32_e32 v4, 16, v4
	v_cmp_ge_i32_e32 vcc_lo, v4, v21
	s_or_b32 s42, vcc_lo, s42
	s_andn2_b32 exec_lo, exec_lo, s42
	s_cbranch_execz .LBB46_3
.LBB46_8:                               ;   Parent Loop BB46_4 Depth=1
                                        ; =>  This Loop Header: Depth=2
                                        ;       Child Loop BB46_12 Depth 3
                                        ;       Child Loop BB46_34 Depth 3
	;; [unrolled: 1-line block ×3, first 2 shown]
	v_ashrrev_i32_e32 v5, 31, v4
	v_mov_b32_e32 v15, 0
	v_mov_b32_e32 v16, 0
	v_lshlrev_b64 v[7:8], 2, v[4:5]
	v_add_co_u32 v7, vcc_lo, s28, v7
	v_add_co_ci_u32_e64 v8, null, s29, v8, vcc_lo
	global_load_dword v2, v[7:8], off
	s_waitcnt vmcnt(0)
	v_subrev_nc_u32_e32 v7, s35, v2
	v_mov_b32_e32 v2, 0
	v_ashrrev_i32_e32 v8, 31, v7
	v_lshlrev_b64 v[9:10], 2, v[7:8]
	v_add_co_u32 v11, vcc_lo, s8, v9
	v_add_co_ci_u32_e64 v12, null, s9, v10, vcc_lo
	v_add_co_u32 v9, vcc_lo, s10, v9
	v_add_co_ci_u32_e64 v10, null, s11, v10, vcc_lo
	global_load_dword v12, v[11:12], off
	global_load_dword v13, v[9:10], off
	v_mov_b32_e32 v9, 0
	v_mov_b32_e32 v10, 0
	s_waitcnt vmcnt(1)
	v_subrev_nc_u32_e32 v11, s4, v12
	s_waitcnt vmcnt(0)
	v_sub_nc_u32_e32 v27, v13, v12
	v_mov_b32_e32 v12, v2
	s_and_saveexec_b32 s43, s0
	s_cbranch_execz .LBB46_16
; %bb.9:                                ;   in Loop: Header=BB46_8 Depth=2
	v_ashrrev_i32_e32 v12, 31, v11
	v_mov_b32_e32 v9, 0
	v_mov_b32_e32 v10, 0
	;; [unrolled: 1-line block ×3, first 2 shown]
	s_mov_b32 s44, 0
	v_lshlrev_b64 v[14:15], 2, v[11:12]
	v_lshlrev_b64 v[12:13], 4, v[11:12]
                                        ; implicit-def: $sgpr45
	v_add_co_u32 v14, vcc_lo, s12, v14
	v_add_co_ci_u32_e64 v17, null, s13, v15, vcc_lo
	v_add_co_u32 v18, vcc_lo, s14, v12
	v_mov_b32_e32 v15, 0
	v_add_co_ci_u32_e64 v19, null, s15, v13, vcc_lo
	v_mov_b32_e32 v12, 0
	v_mov_b32_e32 v16, 0
	s_branch .LBB46_12
.LBB46_10:                              ;   in Loop: Header=BB46_12 Depth=3
	s_or_b32 exec_lo, exec_lo, s1
	v_cmp_le_i32_e32 vcc_lo, v20, v28
	v_cmp_ge_i32_e64 s1, v20, v28
	v_add_co_ci_u32_e64 v2, null, 0, v2, vcc_lo
	v_add_co_ci_u32_e64 v12, null, 0, v12, s1
	s_andn2_b32 s1, s45, exec_lo
	v_cmp_ge_i32_e32 vcc_lo, v2, v22
	s_and_b32 s45, vcc_lo, exec_lo
	s_or_b32 s45, s1, s45
.LBB46_11:                              ;   in Loop: Header=BB46_12 Depth=3
	s_or_b32 exec_lo, exec_lo, s46
	s_and_b32 s1, exec_lo, s45
	s_or_b32 s44, s1, s44
	s_andn2_b32 exec_lo, exec_lo, s44
	s_cbranch_execz .LBB46_15
.LBB46_12:                              ;   Parent Loop BB46_4 Depth=1
                                        ;     Parent Loop BB46_8 Depth=2
                                        ; =>    This Inner Loop Header: Depth=3
	s_or_b32 s45, s45, exec_lo
	s_mov_b32 s46, exec_lo
	v_cmpx_lt_i32_e64 v12, v27
	s_cbranch_execz .LBB46_11
; %bb.13:                               ;   in Loop: Header=BB46_12 Depth=3
	v_mov_b32_e32 v13, v3
	v_lshlrev_b64 v[28:29], 2, v[2:3]
	s_mov_b32 s1, exec_lo
	v_lshlrev_b64 v[30:31], 2, v[12:13]
	v_add_co_u32 v28, vcc_lo, v23, v28
	v_add_co_ci_u32_e64 v29, null, v24, v29, vcc_lo
	v_add_co_u32 v30, vcc_lo, v14, v30
	v_add_co_ci_u32_e64 v31, null, v17, v31, vcc_lo
	global_load_dword v20, v[28:29], off
	global_load_dword v28, v[30:31], off
	s_waitcnt vmcnt(1)
	v_subrev_nc_u32_e32 v20, s40, v20
	s_waitcnt vmcnt(0)
	v_subrev_nc_u32_e32 v28, s4, v28
	v_cmpx_eq_u32_e64 v20, v28
	s_cbranch_execz .LBB46_10
; %bb.14:                               ;   in Loop: Header=BB46_12 Depth=3
	v_lshlrev_b64 v[29:30], 4, v[2:3]
	v_lshlrev_b64 v[31:32], 4, v[12:13]
	v_add_co_u32 v29, vcc_lo, v25, v29
	v_add_co_ci_u32_e64 v30, null, v26, v30, vcc_lo
	v_add_co_u32 v33, vcc_lo, v18, v31
	v_add_co_ci_u32_e64 v34, null, v19, v32, vcc_lo
	global_load_dwordx4 v[29:32], v[29:30], off
	global_load_dwordx4 v[33:36], v[33:34], off
	s_waitcnt vmcnt(0)
	v_fma_f64 v[9:10], v[29:30], v[33:34], v[9:10]
	v_fma_f64 v[15:16], v[31:32], v[33:34], v[15:16]
	v_fma_f64 v[9:10], -v[31:32], v[35:36], v[9:10]
	v_fma_f64 v[15:16], v[29:30], v[35:36], v[15:16]
	s_branch .LBB46_10
.LBB46_15:                              ;   in Loop: Header=BB46_8 Depth=2
	s_or_b32 exec_lo, exec_lo, s44
.LBB46_16:                              ;   in Loop: Header=BB46_8 Depth=2
	s_or_b32 exec_lo, exec_lo, s43
	v_lshlrev_b64 v[13:14], 4, v[4:5]
	v_cmp_le_i32_e64 s1, v1, v7
	s_mov_b32 s43, exec_lo
	v_add_co_u32 v13, vcc_lo, s30, v13
	v_add_co_ci_u32_e64 v14, null, s31, v14, vcc_lo
	global_load_dwordx4 v[17:20], v[13:14], off
	s_waitcnt vmcnt(0)
	v_add_f64 v[13:14], v[17:18], -v[9:10]
	v_add_f64 v[9:10], v[19:20], -v[15:16]
	v_cmpx_gt_i32_e64 v1, v7
	s_cbranch_execz .LBB46_18
; %bb.17:                               ;   in Loop: Header=BB46_8 Depth=2
	v_lshlrev_b64 v[15:16], 4, v[7:8]
	v_add_co_u32 v15, vcc_lo, s36, v15
	v_add_co_ci_u32_e64 v16, null, s37, v16, vcc_lo
	global_load_dwordx4 v[15:18], v[15:16], off
	s_waitcnt vmcnt(0)
	v_mul_f64 v[19:20], v[17:18], v[17:18]
	v_fma_f64 v[19:20], v[15:16], v[15:16], v[19:20]
	v_div_scale_f64 v[28:29], null, v[19:20], v[19:20], 1.0
	v_div_scale_f64 v[34:35], vcc_lo, 1.0, v[19:20], 1.0
	v_rcp_f64_e32 v[30:31], v[28:29]
	v_fma_f64 v[32:33], -v[28:29], v[30:31], 1.0
	v_fma_f64 v[30:31], v[30:31], v[32:33], v[30:31]
	v_fma_f64 v[32:33], -v[28:29], v[30:31], 1.0
	v_fma_f64 v[30:31], v[30:31], v[32:33], v[30:31]
	v_mul_f64 v[32:33], v[34:35], v[30:31]
	v_fma_f64 v[28:29], -v[28:29], v[32:33], v[34:35]
	v_div_fmas_f64 v[28:29], v[28:29], v[30:31], v[32:33]
	v_mul_f64 v[30:31], v[9:10], v[17:18]
	v_mul_f64 v[17:18], v[17:18], -v[13:14]
	v_div_fixup_f64 v[19:20], v[28:29], v[19:20], 1.0
	v_fma_f64 v[13:14], v[13:14], v[15:16], v[30:31]
	v_fma_f64 v[9:10], v[9:10], v[15:16], v[17:18]
	v_mul_f64 v[13:14], v[13:14], v[19:20]
	v_mul_f64 v[9:10], v[9:10], v[19:20]
.LBB46_18:                              ;   in Loop: Header=BB46_8 Depth=2
	s_or_b32 exec_lo, exec_lo, s43
	v_cmp_gt_f64_e32 vcc_lo, 0, v[13:14]
	v_xor_b32_e32 v5, 0x80000000, v14
	v_xor_b32_e32 v17, 0x80000000, v10
	v_mov_b32_e32 v15, v13
	s_mov_b32 s43, exec_lo
                                        ; implicit-def: $vgpr19_vgpr20
	v_cndmask_b32_e32 v16, v14, v5, vcc_lo
	v_cmp_gt_f64_e32 vcc_lo, 0, v[9:10]
	v_cndmask_b32_e32 v18, v10, v17, vcc_lo
	v_mov_b32_e32 v17, v9
	v_cmpx_ngt_f64_e32 v[15:16], v[17:18]
	s_xor_b32 s43, exec_lo, s43
	s_cbranch_execnz .LBB46_21
; %bb.19:                               ;   in Loop: Header=BB46_8 Depth=2
	s_andn2_saveexec_b32 s43, s43
	s_cbranch_execnz .LBB46_24
.LBB46_20:                              ;   in Loop: Header=BB46_8 Depth=2
	s_or_b32 exec_lo, exec_lo, s43
	v_cmp_class_f64_e64 s44, v[19:20], 0x1f8
	s_and_saveexec_b32 s43, s44
	s_cbranch_execz .LBB46_7
	s_branch .LBB46_25
.LBB46_21:                              ;   in Loop: Header=BB46_8 Depth=2
	v_mov_b32_e32 v19, 0
	v_mov_b32_e32 v20, 0
	s_mov_b32 s44, exec_lo
	v_cmpx_neq_f64_e32 0, v[9:10]
	s_cbranch_execz .LBB46_23
; %bb.22:                               ;   in Loop: Header=BB46_8 Depth=2
	v_div_scale_f64 v[19:20], null, v[17:18], v[17:18], v[15:16]
	v_div_scale_f64 v[32:33], vcc_lo, v[15:16], v[17:18], v[15:16]
	v_rcp_f64_e32 v[28:29], v[19:20]
	v_fma_f64 v[30:31], -v[19:20], v[28:29], 1.0
	v_fma_f64 v[28:29], v[28:29], v[30:31], v[28:29]
	v_fma_f64 v[30:31], -v[19:20], v[28:29], 1.0
	v_fma_f64 v[28:29], v[28:29], v[30:31], v[28:29]
	v_mul_f64 v[30:31], v[32:33], v[28:29]
	v_fma_f64 v[19:20], -v[19:20], v[30:31], v[32:33]
	v_div_fmas_f64 v[19:20], v[19:20], v[28:29], v[30:31]
	v_div_fixup_f64 v[15:16], v[19:20], v[17:18], v[15:16]
	v_fma_f64 v[15:16], v[15:16], v[15:16], 1.0
	v_cmp_gt_f64_e32 vcc_lo, 0x10000000, v[15:16]
	v_cndmask_b32_e64 v5, 0, 0x100, vcc_lo
	v_ldexp_f64 v[15:16], v[15:16], v5
	v_cndmask_b32_e64 v5, 0, 0xffffff80, vcc_lo
	v_rsq_f64_e32 v[19:20], v[15:16]
	v_cmp_class_f64_e64 vcc_lo, v[15:16], 0x260
	v_mul_f64 v[28:29], v[15:16], v[19:20]
	v_mul_f64 v[19:20], v[19:20], 0.5
	v_fma_f64 v[30:31], -v[19:20], v[28:29], 0.5
	v_fma_f64 v[28:29], v[28:29], v[30:31], v[28:29]
	v_fma_f64 v[19:20], v[19:20], v[30:31], v[19:20]
	v_fma_f64 v[30:31], -v[28:29], v[28:29], v[15:16]
	v_fma_f64 v[28:29], v[30:31], v[19:20], v[28:29]
	v_fma_f64 v[30:31], -v[28:29], v[28:29], v[15:16]
	v_fma_f64 v[19:20], v[30:31], v[19:20], v[28:29]
	v_ldexp_f64 v[19:20], v[19:20], v5
	v_cndmask_b32_e32 v16, v20, v16, vcc_lo
	v_cndmask_b32_e32 v15, v19, v15, vcc_lo
	v_mul_f64 v[19:20], v[17:18], v[15:16]
.LBB46_23:                              ;   in Loop: Header=BB46_8 Depth=2
	s_or_b32 exec_lo, exec_lo, s44
                                        ; implicit-def: $vgpr15_vgpr16
                                        ; implicit-def: $vgpr17_vgpr18
	s_andn2_saveexec_b32 s43, s43
	s_cbranch_execz .LBB46_20
.LBB46_24:                              ;   in Loop: Header=BB46_8 Depth=2
	v_div_scale_f64 v[19:20], null, v[15:16], v[15:16], v[17:18]
	v_div_scale_f64 v[32:33], vcc_lo, v[17:18], v[15:16], v[17:18]
	v_rcp_f64_e32 v[28:29], v[19:20]
	v_fma_f64 v[30:31], -v[19:20], v[28:29], 1.0
	v_fma_f64 v[28:29], v[28:29], v[30:31], v[28:29]
	v_fma_f64 v[30:31], -v[19:20], v[28:29], 1.0
	v_fma_f64 v[28:29], v[28:29], v[30:31], v[28:29]
	v_mul_f64 v[30:31], v[32:33], v[28:29]
	v_fma_f64 v[19:20], -v[19:20], v[30:31], v[32:33]
	v_div_fmas_f64 v[19:20], v[19:20], v[28:29], v[30:31]
	v_div_fixup_f64 v[17:18], v[19:20], v[15:16], v[17:18]
	v_fma_f64 v[17:18], v[17:18], v[17:18], 1.0
	v_cmp_gt_f64_e32 vcc_lo, 0x10000000, v[17:18]
	v_cndmask_b32_e64 v5, 0, 0x100, vcc_lo
	v_ldexp_f64 v[17:18], v[17:18], v5
	v_cndmask_b32_e64 v5, 0, 0xffffff80, vcc_lo
	v_rsq_f64_e32 v[19:20], v[17:18]
	v_cmp_class_f64_e64 vcc_lo, v[17:18], 0x260
	v_mul_f64 v[28:29], v[17:18], v[19:20]
	v_mul_f64 v[19:20], v[19:20], 0.5
	v_fma_f64 v[30:31], -v[19:20], v[28:29], 0.5
	v_fma_f64 v[28:29], v[28:29], v[30:31], v[28:29]
	v_fma_f64 v[19:20], v[19:20], v[30:31], v[19:20]
	v_fma_f64 v[30:31], -v[28:29], v[28:29], v[17:18]
	v_fma_f64 v[28:29], v[30:31], v[19:20], v[28:29]
	v_fma_f64 v[30:31], -v[28:29], v[28:29], v[17:18]
	v_fma_f64 v[19:20], v[30:31], v[19:20], v[28:29]
	v_ldexp_f64 v[19:20], v[19:20], v5
	v_cndmask_b32_e32 v18, v20, v18, vcc_lo
	v_cndmask_b32_e32 v17, v19, v17, vcc_lo
	v_mul_f64 v[19:20], v[15:16], v[17:18]
	s_or_b32 exec_lo, exec_lo, s43
	v_cmp_class_f64_e64 s44, v[19:20], 0x1f8
	s_and_saveexec_b32 s43, s44
	s_cbranch_execz .LBB46_7
.LBB46_25:                              ;   in Loop: Header=BB46_8 Depth=2
	s_mov_b32 s44, 0
                                        ; implicit-def: $vgpr15_vgpr16
	s_and_saveexec_b32 s45, s1
	s_xor_b32 s1, exec_lo, s45
	s_cbranch_execnz .LBB46_28
; %bb.26:                               ;   in Loop: Header=BB46_8 Depth=2
	s_andn2_saveexec_b32 s1, s1
	s_cbranch_execnz .LBB46_41
.LBB46_27:                              ;   in Loop: Header=BB46_8 Depth=2
	s_or_b32 exec_lo, exec_lo, s1
	s_and_b32 exec_lo, exec_lo, s44
	s_cbranch_execz .LBB46_7
	s_branch .LBB46_50
.LBB46_28:                              ;   in Loop: Header=BB46_8 Depth=2
	s_mov_b32 s45, exec_lo
                                        ; implicit-def: $vgpr15_vgpr16
	v_cmpx_ge_i32_e64 v1, v7
	s_xor_b32 s45, exec_lo, s45
	s_cbranch_execz .LBB46_30
; %bb.29:                               ;   in Loop: Header=BB46_8 Depth=2
	v_lshlrev_b64 v[7:8], 4, v[7:8]
	s_mov_b32 s44, exec_lo
                                        ; implicit-def: $vgpr12
                                        ; implicit-def: $vgpr27
                                        ; implicit-def: $vgpr11
	v_add_co_u32 v15, vcc_lo, s38, v7
	v_add_co_ci_u32_e64 v16, null, s39, v8, vcc_lo
	global_store_dwordx2 v[15:16], v[13:14], off
                                        ; implicit-def: $vgpr13_vgpr14
.LBB46_30:                              ;   in Loop: Header=BB46_8 Depth=2
	s_andn2_saveexec_b32 s45, s45
	s_cbranch_execz .LBB46_40
; %bb.31:                               ;   in Loop: Header=BB46_8 Depth=2
	s_mov_b32 s47, s44
	s_mov_b32 s46, exec_lo
                                        ; implicit-def: $vgpr15_vgpr16
	v_cmpx_lt_i32_e64 v12, v27
	s_cbranch_execz .LBB46_39
; %bb.32:                               ;   in Loop: Header=BB46_8 Depth=2
	s_mov_b32 s48, 0
                                        ; implicit-def: $sgpr47
                                        ; implicit-def: $sgpr50
                                        ; implicit-def: $sgpr49
	s_inst_prefetch 0x1
	s_branch .LBB46_34
	.p2align	6
.LBB46_33:                              ;   in Loop: Header=BB46_34 Depth=3
	s_or_b32 exec_lo, exec_lo, s51
	s_and_b32 s51, exec_lo, s50
	s_or_b32 s48, s51, s48
	s_andn2_b32 s47, s47, exec_lo
	s_and_b32 s51, s49, exec_lo
	s_or_b32 s47, s47, s51
	s_andn2_b32 exec_lo, exec_lo, s48
	s_cbranch_execz .LBB46_36
.LBB46_34:                              ;   Parent Loop BB46_4 Depth=1
                                        ;     Parent Loop BB46_8 Depth=2
                                        ; =>    This Inner Loop Header: Depth=3
	v_add_nc_u32_e32 v7, v11, v12
	s_or_b32 s49, s49, exec_lo
	s_or_b32 s50, s50, exec_lo
	s_mov_b32 s51, exec_lo
	v_ashrrev_i32_e32 v8, 31, v7
	v_lshlrev_b64 v[15:16], 2, v[7:8]
	v_add_co_u32 v15, vcc_lo, s12, v15
	v_add_co_ci_u32_e64 v16, null, s13, v16, vcc_lo
	global_load_dword v2, v[15:16], off
	s_waitcnt vmcnt(0)
	v_subrev_nc_u32_e32 v2, s4, v2
	v_cmpx_ne_u32_e64 v2, v1
	s_cbranch_execz .LBB46_33
; %bb.35:                               ;   in Loop: Header=BB46_34 Depth=3
	v_add_nc_u32_e32 v12, 1, v12
	s_andn2_b32 s50, s50, exec_lo
	s_andn2_b32 s49, s49, exec_lo
	v_cmp_ge_i32_e32 vcc_lo, v12, v27
	s_and_b32 s52, vcc_lo, exec_lo
	s_or_b32 s50, s50, s52
	s_branch .LBB46_33
.LBB46_36:                              ;   in Loop: Header=BB46_8 Depth=2
	s_inst_prefetch 0x2
	s_or_b32 exec_lo, exec_lo, s48
	s_mov_b32 s48, s44
                                        ; implicit-def: $vgpr15_vgpr16
	s_and_saveexec_b32 s49, s47
	s_xor_b32 s47, exec_lo, s49
	s_cbranch_execz .LBB46_38
; %bb.37:                               ;   in Loop: Header=BB46_8 Depth=2
	v_lshlrev_b64 v[7:8], 4, v[7:8]
	s_or_b32 s48, s44, exec_lo
	v_add_co_u32 v15, vcc_lo, s6, v7
	v_add_co_ci_u32_e64 v16, null, s7, v8, vcc_lo
	global_store_dwordx2 v[15:16], v[13:14], off
.LBB46_38:                              ;   in Loop: Header=BB46_8 Depth=2
	s_or_b32 exec_lo, exec_lo, s47
	s_andn2_b32 s47, s44, exec_lo
	s_and_b32 s48, s48, exec_lo
	s_or_b32 s47, s47, s48
.LBB46_39:                              ;   in Loop: Header=BB46_8 Depth=2
	s_or_b32 exec_lo, exec_lo, s46
	s_andn2_b32 s44, s44, exec_lo
	s_and_b32 s46, s47, exec_lo
	s_or_b32 s44, s44, s46
.LBB46_40:                              ;   in Loop: Header=BB46_8 Depth=2
	s_or_b32 exec_lo, exec_lo, s45
	s_and_b32 s44, s44, exec_lo
                                        ; implicit-def: $vgpr13_vgpr14
                                        ; implicit-def: $vgpr7_vgpr8
	s_andn2_saveexec_b32 s1, s1
	s_cbranch_execz .LBB46_27
.LBB46_41:                              ;   in Loop: Header=BB46_8 Depth=2
	s_mov_b32 s46, s44
	s_mov_b32 s45, exec_lo
                                        ; implicit-def: $vgpr15_vgpr16
	v_cmpx_lt_i32_e64 v2, v22
	s_cbranch_execz .LBB46_49
; %bb.42:                               ;   in Loop: Header=BB46_8 Depth=2
	s_mov_b32 s47, 0
                                        ; implicit-def: $sgpr46
                                        ; implicit-def: $sgpr49
                                        ; implicit-def: $sgpr48
	s_inst_prefetch 0x1
	s_branch .LBB46_44
	.p2align	6
.LBB46_43:                              ;   in Loop: Header=BB46_44 Depth=3
	s_or_b32 exec_lo, exec_lo, s50
	s_and_b32 s50, exec_lo, s49
	s_or_b32 s47, s50, s47
	s_andn2_b32 s46, s46, exec_lo
	s_and_b32 s50, s48, exec_lo
	s_or_b32 s46, s46, s50
	s_andn2_b32 exec_lo, exec_lo, s47
	s_cbranch_execz .LBB46_46
.LBB46_44:                              ;   Parent Loop BB46_4 Depth=1
                                        ;     Parent Loop BB46_8 Depth=2
                                        ; =>    This Inner Loop Header: Depth=3
	v_add_nc_u32_e32 v11, v6, v2
	s_or_b32 s48, s48, exec_lo
	s_or_b32 s49, s49, exec_lo
	s_mov_b32 s50, exec_lo
	v_ashrrev_i32_e32 v12, 31, v11
	v_lshlrev_b64 v[15:16], 2, v[11:12]
	v_add_co_u32 v15, vcc_lo, s20, v15
	v_add_co_ci_u32_e64 v16, null, s21, v16, vcc_lo
	global_load_dword v5, v[15:16], off
	s_waitcnt vmcnt(0)
	v_subrev_nc_u32_e32 v5, s40, v5
	v_cmpx_ne_u32_e64 v5, v7
	s_cbranch_execz .LBB46_43
; %bb.45:                               ;   in Loop: Header=BB46_44 Depth=3
	v_add_nc_u32_e32 v2, 1, v2
	s_andn2_b32 s49, s49, exec_lo
	s_andn2_b32 s48, s48, exec_lo
	v_cmp_ge_i32_e32 vcc_lo, v2, v22
	s_and_b32 s51, vcc_lo, exec_lo
	s_or_b32 s49, s49, s51
	s_branch .LBB46_43
.LBB46_46:                              ;   in Loop: Header=BB46_8 Depth=2
	s_inst_prefetch 0x2
	s_or_b32 exec_lo, exec_lo, s47
	s_mov_b32 s47, s44
                                        ; implicit-def: $vgpr15_vgpr16
	s_and_saveexec_b32 s48, s46
	s_xor_b32 s46, exec_lo, s48
	s_cbranch_execz .LBB46_48
; %bb.47:                               ;   in Loop: Header=BB46_8 Depth=2
	v_lshlrev_b64 v[7:8], 4, v[11:12]
	s_or_b32 s47, s44, exec_lo
	v_add_co_u32 v15, vcc_lo, s2, v7
	v_add_co_ci_u32_e64 v16, null, s3, v8, vcc_lo
	global_store_dwordx2 v[15:16], v[13:14], off
.LBB46_48:                              ;   in Loop: Header=BB46_8 Depth=2
	s_or_b32 exec_lo, exec_lo, s46
	s_andn2_b32 s46, s44, exec_lo
	s_and_b32 s47, s47, exec_lo
	s_or_b32 s46, s46, s47
.LBB46_49:                              ;   in Loop: Header=BB46_8 Depth=2
	s_or_b32 exec_lo, exec_lo, s45
	s_andn2_b32 s44, s44, exec_lo
	s_and_b32 s45, s46, exec_lo
	s_or_b32 s44, s44, s45
	s_or_b32 exec_lo, exec_lo, s1
	s_and_b32 exec_lo, exec_lo, s44
	s_cbranch_execz .LBB46_7
.LBB46_50:                              ;   in Loop: Header=BB46_8 Depth=2
	global_store_dwordx2 v[15:16], v[9:10], off offset:8
	s_branch .LBB46_7
.LBB46_51:
	s_endpgm
	.section	.rodata,"a",@progbits
	.p2align	6, 0x0
	.amdhsa_kernel _ZN9rocsparseL17kernel_correctionILi1024ELi16E21rocsparse_complex_numIdEiiEEvT3_T2_PKS4_S6_PKS3_PKT1_21rocsparse_index_base_S6_S6_S8_SB_PS9_SC_S6_S6_S8_SB_SD_SC_SB_SD_
		.amdhsa_group_segment_fixed_size 0
		.amdhsa_private_segment_fixed_size 0
		.amdhsa_kernarg_size 160
		.amdhsa_user_sgpr_count 6
		.amdhsa_user_sgpr_private_segment_buffer 1
		.amdhsa_user_sgpr_dispatch_ptr 0
		.amdhsa_user_sgpr_queue_ptr 0
		.amdhsa_user_sgpr_kernarg_segment_ptr 1
		.amdhsa_user_sgpr_dispatch_id 0
		.amdhsa_user_sgpr_flat_scratch_init 0
		.amdhsa_user_sgpr_private_segment_size 0
		.amdhsa_wavefront_size32 1
		.amdhsa_uses_dynamic_stack 0
		.amdhsa_system_sgpr_private_segment_wavefront_offset 0
		.amdhsa_system_sgpr_workgroup_id_x 1
		.amdhsa_system_sgpr_workgroup_id_y 0
		.amdhsa_system_sgpr_workgroup_id_z 0
		.amdhsa_system_sgpr_workgroup_info 0
		.amdhsa_system_vgpr_workitem_id 0
		.amdhsa_next_free_vgpr 37
		.amdhsa_next_free_sgpr 53
		.amdhsa_reserve_vcc 1
		.amdhsa_reserve_flat_scratch 0
		.amdhsa_float_round_mode_32 0
		.amdhsa_float_round_mode_16_64 0
		.amdhsa_float_denorm_mode_32 3
		.amdhsa_float_denorm_mode_16_64 3
		.amdhsa_dx10_clamp 1
		.amdhsa_ieee_mode 1
		.amdhsa_fp16_overflow 0
		.amdhsa_workgroup_processor_mode 1
		.amdhsa_memory_ordered 1
		.amdhsa_forward_progress 1
		.amdhsa_shared_vgpr_count 0
		.amdhsa_exception_fp_ieee_invalid_op 0
		.amdhsa_exception_fp_denorm_src 0
		.amdhsa_exception_fp_ieee_div_zero 0
		.amdhsa_exception_fp_ieee_overflow 0
		.amdhsa_exception_fp_ieee_underflow 0
		.amdhsa_exception_fp_ieee_inexact 0
		.amdhsa_exception_int_div_zero 0
	.end_amdhsa_kernel
	.section	.text._ZN9rocsparseL17kernel_correctionILi1024ELi16E21rocsparse_complex_numIdEiiEEvT3_T2_PKS4_S6_PKS3_PKT1_21rocsparse_index_base_S6_S6_S8_SB_PS9_SC_S6_S6_S8_SB_SD_SC_SB_SD_,"axG",@progbits,_ZN9rocsparseL17kernel_correctionILi1024ELi16E21rocsparse_complex_numIdEiiEEvT3_T2_PKS4_S6_PKS3_PKT1_21rocsparse_index_base_S6_S6_S8_SB_PS9_SC_S6_S6_S8_SB_SD_SC_SB_SD_,comdat
.Lfunc_end46:
	.size	_ZN9rocsparseL17kernel_correctionILi1024ELi16E21rocsparse_complex_numIdEiiEEvT3_T2_PKS4_S6_PKS3_PKT1_21rocsparse_index_base_S6_S6_S8_SB_PS9_SC_S6_S6_S8_SB_SD_SC_SB_SD_, .Lfunc_end46-_ZN9rocsparseL17kernel_correctionILi1024ELi16E21rocsparse_complex_numIdEiiEEvT3_T2_PKS4_S6_PKS3_PKT1_21rocsparse_index_base_S6_S6_S8_SB_PS9_SC_S6_S6_S8_SB_SD_SC_SB_SD_
                                        ; -- End function
	.set _ZN9rocsparseL17kernel_correctionILi1024ELi16E21rocsparse_complex_numIdEiiEEvT3_T2_PKS4_S6_PKS3_PKT1_21rocsparse_index_base_S6_S6_S8_SB_PS9_SC_S6_S6_S8_SB_SD_SC_SB_SD_.num_vgpr, 37
	.set _ZN9rocsparseL17kernel_correctionILi1024ELi16E21rocsparse_complex_numIdEiiEEvT3_T2_PKS4_S6_PKS3_PKT1_21rocsparse_index_base_S6_S6_S8_SB_PS9_SC_S6_S6_S8_SB_SD_SC_SB_SD_.num_agpr, 0
	.set _ZN9rocsparseL17kernel_correctionILi1024ELi16E21rocsparse_complex_numIdEiiEEvT3_T2_PKS4_S6_PKS3_PKT1_21rocsparse_index_base_S6_S6_S8_SB_PS9_SC_S6_S6_S8_SB_SD_SC_SB_SD_.numbered_sgpr, 53
	.set _ZN9rocsparseL17kernel_correctionILi1024ELi16E21rocsparse_complex_numIdEiiEEvT3_T2_PKS4_S6_PKS3_PKT1_21rocsparse_index_base_S6_S6_S8_SB_PS9_SC_S6_S6_S8_SB_SD_SC_SB_SD_.num_named_barrier, 0
	.set _ZN9rocsparseL17kernel_correctionILi1024ELi16E21rocsparse_complex_numIdEiiEEvT3_T2_PKS4_S6_PKS3_PKT1_21rocsparse_index_base_S6_S6_S8_SB_PS9_SC_S6_S6_S8_SB_SD_SC_SB_SD_.private_seg_size, 0
	.set _ZN9rocsparseL17kernel_correctionILi1024ELi16E21rocsparse_complex_numIdEiiEEvT3_T2_PKS4_S6_PKS3_PKT1_21rocsparse_index_base_S6_S6_S8_SB_PS9_SC_S6_S6_S8_SB_SD_SC_SB_SD_.uses_vcc, 1
	.set _ZN9rocsparseL17kernel_correctionILi1024ELi16E21rocsparse_complex_numIdEiiEEvT3_T2_PKS4_S6_PKS3_PKT1_21rocsparse_index_base_S6_S6_S8_SB_PS9_SC_S6_S6_S8_SB_SD_SC_SB_SD_.uses_flat_scratch, 0
	.set _ZN9rocsparseL17kernel_correctionILi1024ELi16E21rocsparse_complex_numIdEiiEEvT3_T2_PKS4_S6_PKS3_PKT1_21rocsparse_index_base_S6_S6_S8_SB_PS9_SC_S6_S6_S8_SB_SD_SC_SB_SD_.has_dyn_sized_stack, 0
	.set _ZN9rocsparseL17kernel_correctionILi1024ELi16E21rocsparse_complex_numIdEiiEEvT3_T2_PKS4_S6_PKS3_PKT1_21rocsparse_index_base_S6_S6_S8_SB_PS9_SC_S6_S6_S8_SB_SD_SC_SB_SD_.has_recursion, 0
	.set _ZN9rocsparseL17kernel_correctionILi1024ELi16E21rocsparse_complex_numIdEiiEEvT3_T2_PKS4_S6_PKS3_PKT1_21rocsparse_index_base_S6_S6_S8_SB_PS9_SC_S6_S6_S8_SB_SD_SC_SB_SD_.has_indirect_call, 0
	.section	.AMDGPU.csdata,"",@progbits
; Kernel info:
; codeLenInByte = 2620
; TotalNumSgprs: 55
; NumVgprs: 37
; ScratchSize: 0
; MemoryBound: 1
; FloatMode: 240
; IeeeMode: 1
; LDSByteSize: 0 bytes/workgroup (compile time only)
; SGPRBlocks: 0
; VGPRBlocks: 4
; NumSGPRsForWavesPerEU: 55
; NumVGPRsForWavesPerEU: 37
; Occupancy: 16
; WaveLimiterHint : 1
; COMPUTE_PGM_RSRC2:SCRATCH_EN: 0
; COMPUTE_PGM_RSRC2:USER_SGPR: 6
; COMPUTE_PGM_RSRC2:TRAP_HANDLER: 0
; COMPUTE_PGM_RSRC2:TGID_X_EN: 1
; COMPUTE_PGM_RSRC2:TGID_Y_EN: 0
; COMPUTE_PGM_RSRC2:TGID_Z_EN: 0
; COMPUTE_PGM_RSRC2:TIDIG_COMP_CNT: 0
	.section	.text._ZN9rocsparseL17kernel_correctionILi1024ELi32E21rocsparse_complex_numIdEiiEEvT3_T2_PKS4_S6_PKS3_PKT1_21rocsparse_index_base_S6_S6_S8_SB_PS9_SC_S6_S6_S8_SB_SD_SC_SB_SD_,"axG",@progbits,_ZN9rocsparseL17kernel_correctionILi1024ELi32E21rocsparse_complex_numIdEiiEEvT3_T2_PKS4_S6_PKS3_PKT1_21rocsparse_index_base_S6_S6_S8_SB_PS9_SC_S6_S6_S8_SB_SD_SC_SB_SD_,comdat
	.globl	_ZN9rocsparseL17kernel_correctionILi1024ELi32E21rocsparse_complex_numIdEiiEEvT3_T2_PKS4_S6_PKS3_PKT1_21rocsparse_index_base_S6_S6_S8_SB_PS9_SC_S6_S6_S8_SB_SD_SC_SB_SD_ ; -- Begin function _ZN9rocsparseL17kernel_correctionILi1024ELi32E21rocsparse_complex_numIdEiiEEvT3_T2_PKS4_S6_PKS3_PKT1_21rocsparse_index_base_S6_S6_S8_SB_PS9_SC_S6_S6_S8_SB_SD_SC_SB_SD_
	.p2align	8
	.type	_ZN9rocsparseL17kernel_correctionILi1024ELi32E21rocsparse_complex_numIdEiiEEvT3_T2_PKS4_S6_PKS3_PKT1_21rocsparse_index_base_S6_S6_S8_SB_PS9_SC_S6_S6_S8_SB_SD_SC_SB_SD_,@function
_ZN9rocsparseL17kernel_correctionILi1024ELi32E21rocsparse_complex_numIdEiiEEvT3_T2_PKS4_S6_PKS3_PKT1_21rocsparse_index_base_S6_S6_S8_SB_PS9_SC_S6_S6_S8_SB_SD_SC_SB_SD_: ; @_ZN9rocsparseL17kernel_correctionILi1024ELi32E21rocsparse_complex_numIdEiiEEvT3_T2_PKS4_S6_PKS3_PKT1_21rocsparse_index_base_S6_S6_S8_SB_PS9_SC_S6_S6_S8_SB_SD_SC_SB_SD_
; %bb.0:
	s_load_dword s33, s[4:5], 0x0
	v_lshrrev_b32_e32 v1, 5, v0
	s_lshl_b32 s34, s6, 10
	s_mov_b32 s0, exec_lo
	v_or_b32_e32 v1, s34, v1
	s_waitcnt lgkmcnt(0)
	v_cmpx_gt_i32_e64 s33, v1
	s_cbranch_execz .LBB47_51
; %bb.1:
	s_addk_i32 s34, 0x400
	v_cmp_gt_u32_e32 vcc_lo, s34, v1
	s_and_b32 exec_lo, exec_lo, vcc_lo
	s_cbranch_execz .LBB47_51
; %bb.2:
	s_clause 0x8
	s_load_dwordx4 s[36:39], s[4:5], 0x90
	s_load_dwordx8 s[8:15], s[4:5], 0x60
	s_load_dword s35, s[4:5], 0x28
	s_load_dwordx8 s[16:23], s[4:5], 0x30
	s_load_dwordx8 s[24:31], s[4:5], 0x8
	s_load_dwordx2 s[2:3], s[4:5], 0x50
	s_load_dword s40, s[4:5], 0x58
	s_load_dwordx2 s[6:7], s[4:5], 0x80
	s_load_dword s4, s[4:5], 0x88
	v_and_b32_e32 v0, 31, v0
	v_mov_b32_e32 v3, 0
	s_mov_b32 s5, 0
	s_waitcnt lgkmcnt(0)
	v_subrev_nc_u32_e32 v0, s35, v0
	s_branch .LBB47_4
.LBB47_3:                               ;   in Loop: Header=BB47_4 Depth=1
	s_or_b32 exec_lo, exec_lo, s41
	v_add_nc_u32_e32 v1, 32, v1
	v_cmp_le_u32_e32 vcc_lo, s34, v1
	s_or_b32 s5, vcc_lo, s5
	s_andn2_b32 exec_lo, exec_lo, s5
	s_cbranch_execz .LBB47_51
.LBB47_4:                               ; =>This Loop Header: Depth=1
                                        ;     Child Loop BB47_8 Depth 2
                                        ;       Child Loop BB47_12 Depth 3
                                        ;       Child Loop BB47_34 Depth 3
	;; [unrolled: 1-line block ×3, first 2 shown]
	s_mov_b32 s41, exec_lo
	v_cmpx_gt_i32_e64 s33, v1
	s_cbranch_execz .LBB47_3
; %bb.5:                                ;   in Loop: Header=BB47_4 Depth=1
	v_ashrrev_i32_e32 v2, 31, v1
	v_lshlrev_b64 v[5:6], 2, v[1:2]
	v_add_co_u32 v7, vcc_lo, s24, v5
	v_add_co_ci_u32_e64 v8, null, s25, v6, vcc_lo
	v_add_co_u32 v9, vcc_lo, s26, v5
	v_add_co_ci_u32_e64 v10, null, s27, v6, vcc_lo
	global_load_dword v2, v[7:8], off
	global_load_dword v7, v[9:10], off
	s_waitcnt vmcnt(1)
	v_add_nc_u32_e32 v4, v0, v2
	s_waitcnt vmcnt(0)
	v_subrev_nc_u32_e32 v21, s35, v7
	v_cmp_lt_i32_e32 vcc_lo, v4, v21
	s_and_b32 exec_lo, exec_lo, vcc_lo
	s_cbranch_execz .LBB47_3
; %bb.6:                                ;   in Loop: Header=BB47_4 Depth=1
	v_add_co_u32 v7, vcc_lo, s16, v5
	v_add_co_ci_u32_e64 v8, null, s17, v6, vcc_lo
	v_add_co_u32 v5, vcc_lo, s18, v5
	v_add_co_ci_u32_e64 v6, null, s19, v6, vcc_lo
	global_load_dword v2, v[7:8], off
	s_mov_b32 s42, 0
	global_load_dword v5, v[5:6], off
	s_waitcnt vmcnt(1)
	v_subrev_nc_u32_e32 v6, s40, v2
	s_waitcnt vmcnt(0)
	v_sub_nc_u32_e32 v22, v5, v2
	v_ashrrev_i32_e32 v7, 31, v6
	v_cmp_lt_i32_e64 s0, 0, v22
	v_lshlrev_b64 v[8:9], 2, v[6:7]
	v_lshlrev_b64 v[10:11], 4, v[6:7]
	v_add_co_u32 v23, vcc_lo, s20, v8
	v_add_co_ci_u32_e64 v24, null, s21, v9, vcc_lo
	v_add_co_u32 v25, vcc_lo, s22, v10
	v_add_co_ci_u32_e64 v26, null, s23, v11, vcc_lo
	s_branch .LBB47_8
.LBB47_7:                               ;   in Loop: Header=BB47_8 Depth=2
	s_or_b32 exec_lo, exec_lo, s43
	v_add_nc_u32_e32 v4, 32, v4
	v_cmp_ge_i32_e32 vcc_lo, v4, v21
	s_or_b32 s42, vcc_lo, s42
	s_andn2_b32 exec_lo, exec_lo, s42
	s_cbranch_execz .LBB47_3
.LBB47_8:                               ;   Parent Loop BB47_4 Depth=1
                                        ; =>  This Loop Header: Depth=2
                                        ;       Child Loop BB47_12 Depth 3
                                        ;       Child Loop BB47_34 Depth 3
	;; [unrolled: 1-line block ×3, first 2 shown]
	v_ashrrev_i32_e32 v5, 31, v4
	v_mov_b32_e32 v15, 0
	v_mov_b32_e32 v16, 0
	v_lshlrev_b64 v[7:8], 2, v[4:5]
	v_add_co_u32 v7, vcc_lo, s28, v7
	v_add_co_ci_u32_e64 v8, null, s29, v8, vcc_lo
	global_load_dword v2, v[7:8], off
	s_waitcnt vmcnt(0)
	v_subrev_nc_u32_e32 v7, s35, v2
	v_mov_b32_e32 v2, 0
	v_ashrrev_i32_e32 v8, 31, v7
	v_lshlrev_b64 v[9:10], 2, v[7:8]
	v_add_co_u32 v11, vcc_lo, s8, v9
	v_add_co_ci_u32_e64 v12, null, s9, v10, vcc_lo
	v_add_co_u32 v9, vcc_lo, s10, v9
	v_add_co_ci_u32_e64 v10, null, s11, v10, vcc_lo
	global_load_dword v12, v[11:12], off
	global_load_dword v13, v[9:10], off
	v_mov_b32_e32 v9, 0
	v_mov_b32_e32 v10, 0
	s_waitcnt vmcnt(1)
	v_subrev_nc_u32_e32 v11, s4, v12
	s_waitcnt vmcnt(0)
	v_sub_nc_u32_e32 v27, v13, v12
	v_mov_b32_e32 v12, v2
	s_and_saveexec_b32 s43, s0
	s_cbranch_execz .LBB47_16
; %bb.9:                                ;   in Loop: Header=BB47_8 Depth=2
	v_ashrrev_i32_e32 v12, 31, v11
	v_mov_b32_e32 v9, 0
	v_mov_b32_e32 v10, 0
	;; [unrolled: 1-line block ×3, first 2 shown]
	s_mov_b32 s44, 0
	v_lshlrev_b64 v[14:15], 2, v[11:12]
	v_lshlrev_b64 v[12:13], 4, v[11:12]
                                        ; implicit-def: $sgpr45
	v_add_co_u32 v14, vcc_lo, s12, v14
	v_add_co_ci_u32_e64 v17, null, s13, v15, vcc_lo
	v_add_co_u32 v18, vcc_lo, s14, v12
	v_mov_b32_e32 v15, 0
	v_add_co_ci_u32_e64 v19, null, s15, v13, vcc_lo
	v_mov_b32_e32 v12, 0
	v_mov_b32_e32 v16, 0
	s_branch .LBB47_12
.LBB47_10:                              ;   in Loop: Header=BB47_12 Depth=3
	s_or_b32 exec_lo, exec_lo, s1
	v_cmp_le_i32_e32 vcc_lo, v20, v28
	v_cmp_ge_i32_e64 s1, v20, v28
	v_add_co_ci_u32_e64 v2, null, 0, v2, vcc_lo
	v_add_co_ci_u32_e64 v12, null, 0, v12, s1
	s_andn2_b32 s1, s45, exec_lo
	v_cmp_ge_i32_e32 vcc_lo, v2, v22
	s_and_b32 s45, vcc_lo, exec_lo
	s_or_b32 s45, s1, s45
.LBB47_11:                              ;   in Loop: Header=BB47_12 Depth=3
	s_or_b32 exec_lo, exec_lo, s46
	s_and_b32 s1, exec_lo, s45
	s_or_b32 s44, s1, s44
	s_andn2_b32 exec_lo, exec_lo, s44
	s_cbranch_execz .LBB47_15
.LBB47_12:                              ;   Parent Loop BB47_4 Depth=1
                                        ;     Parent Loop BB47_8 Depth=2
                                        ; =>    This Inner Loop Header: Depth=3
	s_or_b32 s45, s45, exec_lo
	s_mov_b32 s46, exec_lo
	v_cmpx_lt_i32_e64 v12, v27
	s_cbranch_execz .LBB47_11
; %bb.13:                               ;   in Loop: Header=BB47_12 Depth=3
	v_mov_b32_e32 v13, v3
	v_lshlrev_b64 v[28:29], 2, v[2:3]
	s_mov_b32 s1, exec_lo
	v_lshlrev_b64 v[30:31], 2, v[12:13]
	v_add_co_u32 v28, vcc_lo, v23, v28
	v_add_co_ci_u32_e64 v29, null, v24, v29, vcc_lo
	v_add_co_u32 v30, vcc_lo, v14, v30
	v_add_co_ci_u32_e64 v31, null, v17, v31, vcc_lo
	global_load_dword v20, v[28:29], off
	global_load_dword v28, v[30:31], off
	s_waitcnt vmcnt(1)
	v_subrev_nc_u32_e32 v20, s40, v20
	s_waitcnt vmcnt(0)
	v_subrev_nc_u32_e32 v28, s4, v28
	v_cmpx_eq_u32_e64 v20, v28
	s_cbranch_execz .LBB47_10
; %bb.14:                               ;   in Loop: Header=BB47_12 Depth=3
	v_lshlrev_b64 v[29:30], 4, v[2:3]
	v_lshlrev_b64 v[31:32], 4, v[12:13]
	v_add_co_u32 v29, vcc_lo, v25, v29
	v_add_co_ci_u32_e64 v30, null, v26, v30, vcc_lo
	v_add_co_u32 v33, vcc_lo, v18, v31
	v_add_co_ci_u32_e64 v34, null, v19, v32, vcc_lo
	global_load_dwordx4 v[29:32], v[29:30], off
	global_load_dwordx4 v[33:36], v[33:34], off
	s_waitcnt vmcnt(0)
	v_fma_f64 v[9:10], v[29:30], v[33:34], v[9:10]
	v_fma_f64 v[15:16], v[31:32], v[33:34], v[15:16]
	v_fma_f64 v[9:10], -v[31:32], v[35:36], v[9:10]
	v_fma_f64 v[15:16], v[29:30], v[35:36], v[15:16]
	s_branch .LBB47_10
.LBB47_15:                              ;   in Loop: Header=BB47_8 Depth=2
	s_or_b32 exec_lo, exec_lo, s44
.LBB47_16:                              ;   in Loop: Header=BB47_8 Depth=2
	s_or_b32 exec_lo, exec_lo, s43
	v_lshlrev_b64 v[13:14], 4, v[4:5]
	v_cmp_le_i32_e64 s1, v1, v7
	s_mov_b32 s43, exec_lo
	v_add_co_u32 v13, vcc_lo, s30, v13
	v_add_co_ci_u32_e64 v14, null, s31, v14, vcc_lo
	global_load_dwordx4 v[17:20], v[13:14], off
	s_waitcnt vmcnt(0)
	v_add_f64 v[13:14], v[17:18], -v[9:10]
	v_add_f64 v[9:10], v[19:20], -v[15:16]
	v_cmpx_gt_i32_e64 v1, v7
	s_cbranch_execz .LBB47_18
; %bb.17:                               ;   in Loop: Header=BB47_8 Depth=2
	v_lshlrev_b64 v[15:16], 4, v[7:8]
	v_add_co_u32 v15, vcc_lo, s36, v15
	v_add_co_ci_u32_e64 v16, null, s37, v16, vcc_lo
	global_load_dwordx4 v[15:18], v[15:16], off
	s_waitcnt vmcnt(0)
	v_mul_f64 v[19:20], v[17:18], v[17:18]
	v_fma_f64 v[19:20], v[15:16], v[15:16], v[19:20]
	v_div_scale_f64 v[28:29], null, v[19:20], v[19:20], 1.0
	v_div_scale_f64 v[34:35], vcc_lo, 1.0, v[19:20], 1.0
	v_rcp_f64_e32 v[30:31], v[28:29]
	v_fma_f64 v[32:33], -v[28:29], v[30:31], 1.0
	v_fma_f64 v[30:31], v[30:31], v[32:33], v[30:31]
	v_fma_f64 v[32:33], -v[28:29], v[30:31], 1.0
	v_fma_f64 v[30:31], v[30:31], v[32:33], v[30:31]
	v_mul_f64 v[32:33], v[34:35], v[30:31]
	v_fma_f64 v[28:29], -v[28:29], v[32:33], v[34:35]
	v_div_fmas_f64 v[28:29], v[28:29], v[30:31], v[32:33]
	v_mul_f64 v[30:31], v[9:10], v[17:18]
	v_mul_f64 v[17:18], v[17:18], -v[13:14]
	v_div_fixup_f64 v[19:20], v[28:29], v[19:20], 1.0
	v_fma_f64 v[13:14], v[13:14], v[15:16], v[30:31]
	v_fma_f64 v[9:10], v[9:10], v[15:16], v[17:18]
	v_mul_f64 v[13:14], v[13:14], v[19:20]
	v_mul_f64 v[9:10], v[9:10], v[19:20]
.LBB47_18:                              ;   in Loop: Header=BB47_8 Depth=2
	s_or_b32 exec_lo, exec_lo, s43
	v_cmp_gt_f64_e32 vcc_lo, 0, v[13:14]
	v_xor_b32_e32 v5, 0x80000000, v14
	v_xor_b32_e32 v17, 0x80000000, v10
	v_mov_b32_e32 v15, v13
	s_mov_b32 s43, exec_lo
                                        ; implicit-def: $vgpr19_vgpr20
	v_cndmask_b32_e32 v16, v14, v5, vcc_lo
	v_cmp_gt_f64_e32 vcc_lo, 0, v[9:10]
	v_cndmask_b32_e32 v18, v10, v17, vcc_lo
	v_mov_b32_e32 v17, v9
	v_cmpx_ngt_f64_e32 v[15:16], v[17:18]
	s_xor_b32 s43, exec_lo, s43
	s_cbranch_execnz .LBB47_21
; %bb.19:                               ;   in Loop: Header=BB47_8 Depth=2
	s_andn2_saveexec_b32 s43, s43
	s_cbranch_execnz .LBB47_24
.LBB47_20:                              ;   in Loop: Header=BB47_8 Depth=2
	s_or_b32 exec_lo, exec_lo, s43
	v_cmp_class_f64_e64 s44, v[19:20], 0x1f8
	s_and_saveexec_b32 s43, s44
	s_cbranch_execz .LBB47_7
	s_branch .LBB47_25
.LBB47_21:                              ;   in Loop: Header=BB47_8 Depth=2
	v_mov_b32_e32 v19, 0
	v_mov_b32_e32 v20, 0
	s_mov_b32 s44, exec_lo
	v_cmpx_neq_f64_e32 0, v[9:10]
	s_cbranch_execz .LBB47_23
; %bb.22:                               ;   in Loop: Header=BB47_8 Depth=2
	v_div_scale_f64 v[19:20], null, v[17:18], v[17:18], v[15:16]
	v_div_scale_f64 v[32:33], vcc_lo, v[15:16], v[17:18], v[15:16]
	v_rcp_f64_e32 v[28:29], v[19:20]
	v_fma_f64 v[30:31], -v[19:20], v[28:29], 1.0
	v_fma_f64 v[28:29], v[28:29], v[30:31], v[28:29]
	v_fma_f64 v[30:31], -v[19:20], v[28:29], 1.0
	v_fma_f64 v[28:29], v[28:29], v[30:31], v[28:29]
	v_mul_f64 v[30:31], v[32:33], v[28:29]
	v_fma_f64 v[19:20], -v[19:20], v[30:31], v[32:33]
	v_div_fmas_f64 v[19:20], v[19:20], v[28:29], v[30:31]
	v_div_fixup_f64 v[15:16], v[19:20], v[17:18], v[15:16]
	v_fma_f64 v[15:16], v[15:16], v[15:16], 1.0
	v_cmp_gt_f64_e32 vcc_lo, 0x10000000, v[15:16]
	v_cndmask_b32_e64 v5, 0, 0x100, vcc_lo
	v_ldexp_f64 v[15:16], v[15:16], v5
	v_cndmask_b32_e64 v5, 0, 0xffffff80, vcc_lo
	v_rsq_f64_e32 v[19:20], v[15:16]
	v_cmp_class_f64_e64 vcc_lo, v[15:16], 0x260
	v_mul_f64 v[28:29], v[15:16], v[19:20]
	v_mul_f64 v[19:20], v[19:20], 0.5
	v_fma_f64 v[30:31], -v[19:20], v[28:29], 0.5
	v_fma_f64 v[28:29], v[28:29], v[30:31], v[28:29]
	v_fma_f64 v[19:20], v[19:20], v[30:31], v[19:20]
	v_fma_f64 v[30:31], -v[28:29], v[28:29], v[15:16]
	v_fma_f64 v[28:29], v[30:31], v[19:20], v[28:29]
	v_fma_f64 v[30:31], -v[28:29], v[28:29], v[15:16]
	v_fma_f64 v[19:20], v[30:31], v[19:20], v[28:29]
	v_ldexp_f64 v[19:20], v[19:20], v5
	v_cndmask_b32_e32 v16, v20, v16, vcc_lo
	v_cndmask_b32_e32 v15, v19, v15, vcc_lo
	v_mul_f64 v[19:20], v[17:18], v[15:16]
.LBB47_23:                              ;   in Loop: Header=BB47_8 Depth=2
	s_or_b32 exec_lo, exec_lo, s44
                                        ; implicit-def: $vgpr15_vgpr16
                                        ; implicit-def: $vgpr17_vgpr18
	s_andn2_saveexec_b32 s43, s43
	s_cbranch_execz .LBB47_20
.LBB47_24:                              ;   in Loop: Header=BB47_8 Depth=2
	v_div_scale_f64 v[19:20], null, v[15:16], v[15:16], v[17:18]
	v_div_scale_f64 v[32:33], vcc_lo, v[17:18], v[15:16], v[17:18]
	v_rcp_f64_e32 v[28:29], v[19:20]
	v_fma_f64 v[30:31], -v[19:20], v[28:29], 1.0
	v_fma_f64 v[28:29], v[28:29], v[30:31], v[28:29]
	v_fma_f64 v[30:31], -v[19:20], v[28:29], 1.0
	v_fma_f64 v[28:29], v[28:29], v[30:31], v[28:29]
	v_mul_f64 v[30:31], v[32:33], v[28:29]
	v_fma_f64 v[19:20], -v[19:20], v[30:31], v[32:33]
	v_div_fmas_f64 v[19:20], v[19:20], v[28:29], v[30:31]
	v_div_fixup_f64 v[17:18], v[19:20], v[15:16], v[17:18]
	v_fma_f64 v[17:18], v[17:18], v[17:18], 1.0
	v_cmp_gt_f64_e32 vcc_lo, 0x10000000, v[17:18]
	v_cndmask_b32_e64 v5, 0, 0x100, vcc_lo
	v_ldexp_f64 v[17:18], v[17:18], v5
	v_cndmask_b32_e64 v5, 0, 0xffffff80, vcc_lo
	v_rsq_f64_e32 v[19:20], v[17:18]
	v_cmp_class_f64_e64 vcc_lo, v[17:18], 0x260
	v_mul_f64 v[28:29], v[17:18], v[19:20]
	v_mul_f64 v[19:20], v[19:20], 0.5
	v_fma_f64 v[30:31], -v[19:20], v[28:29], 0.5
	v_fma_f64 v[28:29], v[28:29], v[30:31], v[28:29]
	v_fma_f64 v[19:20], v[19:20], v[30:31], v[19:20]
	v_fma_f64 v[30:31], -v[28:29], v[28:29], v[17:18]
	v_fma_f64 v[28:29], v[30:31], v[19:20], v[28:29]
	v_fma_f64 v[30:31], -v[28:29], v[28:29], v[17:18]
	v_fma_f64 v[19:20], v[30:31], v[19:20], v[28:29]
	v_ldexp_f64 v[19:20], v[19:20], v5
	v_cndmask_b32_e32 v18, v20, v18, vcc_lo
	v_cndmask_b32_e32 v17, v19, v17, vcc_lo
	v_mul_f64 v[19:20], v[15:16], v[17:18]
	s_or_b32 exec_lo, exec_lo, s43
	v_cmp_class_f64_e64 s44, v[19:20], 0x1f8
	s_and_saveexec_b32 s43, s44
	s_cbranch_execz .LBB47_7
.LBB47_25:                              ;   in Loop: Header=BB47_8 Depth=2
	s_mov_b32 s44, 0
                                        ; implicit-def: $vgpr15_vgpr16
	s_and_saveexec_b32 s45, s1
	s_xor_b32 s1, exec_lo, s45
	s_cbranch_execnz .LBB47_28
; %bb.26:                               ;   in Loop: Header=BB47_8 Depth=2
	s_andn2_saveexec_b32 s1, s1
	s_cbranch_execnz .LBB47_41
.LBB47_27:                              ;   in Loop: Header=BB47_8 Depth=2
	s_or_b32 exec_lo, exec_lo, s1
	s_and_b32 exec_lo, exec_lo, s44
	s_cbranch_execz .LBB47_7
	s_branch .LBB47_50
.LBB47_28:                              ;   in Loop: Header=BB47_8 Depth=2
	s_mov_b32 s45, exec_lo
                                        ; implicit-def: $vgpr15_vgpr16
	v_cmpx_ge_i32_e64 v1, v7
	s_xor_b32 s45, exec_lo, s45
	s_cbranch_execz .LBB47_30
; %bb.29:                               ;   in Loop: Header=BB47_8 Depth=2
	v_lshlrev_b64 v[7:8], 4, v[7:8]
	s_mov_b32 s44, exec_lo
                                        ; implicit-def: $vgpr12
                                        ; implicit-def: $vgpr27
                                        ; implicit-def: $vgpr11
	v_add_co_u32 v15, vcc_lo, s38, v7
	v_add_co_ci_u32_e64 v16, null, s39, v8, vcc_lo
	global_store_dwordx2 v[15:16], v[13:14], off
                                        ; implicit-def: $vgpr13_vgpr14
.LBB47_30:                              ;   in Loop: Header=BB47_8 Depth=2
	s_andn2_saveexec_b32 s45, s45
	s_cbranch_execz .LBB47_40
; %bb.31:                               ;   in Loop: Header=BB47_8 Depth=2
	s_mov_b32 s47, s44
	s_mov_b32 s46, exec_lo
                                        ; implicit-def: $vgpr15_vgpr16
	v_cmpx_lt_i32_e64 v12, v27
	s_cbranch_execz .LBB47_39
; %bb.32:                               ;   in Loop: Header=BB47_8 Depth=2
	s_mov_b32 s48, 0
                                        ; implicit-def: $sgpr47
                                        ; implicit-def: $sgpr50
                                        ; implicit-def: $sgpr49
	s_inst_prefetch 0x1
	s_branch .LBB47_34
	.p2align	6
.LBB47_33:                              ;   in Loop: Header=BB47_34 Depth=3
	s_or_b32 exec_lo, exec_lo, s51
	s_and_b32 s51, exec_lo, s50
	s_or_b32 s48, s51, s48
	s_andn2_b32 s47, s47, exec_lo
	s_and_b32 s51, s49, exec_lo
	s_or_b32 s47, s47, s51
	s_andn2_b32 exec_lo, exec_lo, s48
	s_cbranch_execz .LBB47_36
.LBB47_34:                              ;   Parent Loop BB47_4 Depth=1
                                        ;     Parent Loop BB47_8 Depth=2
                                        ; =>    This Inner Loop Header: Depth=3
	v_add_nc_u32_e32 v7, v11, v12
	s_or_b32 s49, s49, exec_lo
	s_or_b32 s50, s50, exec_lo
	s_mov_b32 s51, exec_lo
	v_ashrrev_i32_e32 v8, 31, v7
	v_lshlrev_b64 v[15:16], 2, v[7:8]
	v_add_co_u32 v15, vcc_lo, s12, v15
	v_add_co_ci_u32_e64 v16, null, s13, v16, vcc_lo
	global_load_dword v2, v[15:16], off
	s_waitcnt vmcnt(0)
	v_subrev_nc_u32_e32 v2, s4, v2
	v_cmpx_ne_u32_e64 v2, v1
	s_cbranch_execz .LBB47_33
; %bb.35:                               ;   in Loop: Header=BB47_34 Depth=3
	v_add_nc_u32_e32 v12, 1, v12
	s_andn2_b32 s50, s50, exec_lo
	s_andn2_b32 s49, s49, exec_lo
	v_cmp_ge_i32_e32 vcc_lo, v12, v27
	s_and_b32 s52, vcc_lo, exec_lo
	s_or_b32 s50, s50, s52
	s_branch .LBB47_33
.LBB47_36:                              ;   in Loop: Header=BB47_8 Depth=2
	s_inst_prefetch 0x2
	s_or_b32 exec_lo, exec_lo, s48
	s_mov_b32 s48, s44
                                        ; implicit-def: $vgpr15_vgpr16
	s_and_saveexec_b32 s49, s47
	s_xor_b32 s47, exec_lo, s49
	s_cbranch_execz .LBB47_38
; %bb.37:                               ;   in Loop: Header=BB47_8 Depth=2
	v_lshlrev_b64 v[7:8], 4, v[7:8]
	s_or_b32 s48, s44, exec_lo
	v_add_co_u32 v15, vcc_lo, s6, v7
	v_add_co_ci_u32_e64 v16, null, s7, v8, vcc_lo
	global_store_dwordx2 v[15:16], v[13:14], off
.LBB47_38:                              ;   in Loop: Header=BB47_8 Depth=2
	s_or_b32 exec_lo, exec_lo, s47
	s_andn2_b32 s47, s44, exec_lo
	s_and_b32 s48, s48, exec_lo
	s_or_b32 s47, s47, s48
.LBB47_39:                              ;   in Loop: Header=BB47_8 Depth=2
	s_or_b32 exec_lo, exec_lo, s46
	s_andn2_b32 s44, s44, exec_lo
	s_and_b32 s46, s47, exec_lo
	s_or_b32 s44, s44, s46
.LBB47_40:                              ;   in Loop: Header=BB47_8 Depth=2
	s_or_b32 exec_lo, exec_lo, s45
	s_and_b32 s44, s44, exec_lo
                                        ; implicit-def: $vgpr13_vgpr14
                                        ; implicit-def: $vgpr7_vgpr8
	s_andn2_saveexec_b32 s1, s1
	s_cbranch_execz .LBB47_27
.LBB47_41:                              ;   in Loop: Header=BB47_8 Depth=2
	s_mov_b32 s46, s44
	s_mov_b32 s45, exec_lo
                                        ; implicit-def: $vgpr15_vgpr16
	v_cmpx_lt_i32_e64 v2, v22
	s_cbranch_execz .LBB47_49
; %bb.42:                               ;   in Loop: Header=BB47_8 Depth=2
	s_mov_b32 s47, 0
                                        ; implicit-def: $sgpr46
                                        ; implicit-def: $sgpr49
                                        ; implicit-def: $sgpr48
	s_inst_prefetch 0x1
	s_branch .LBB47_44
	.p2align	6
.LBB47_43:                              ;   in Loop: Header=BB47_44 Depth=3
	s_or_b32 exec_lo, exec_lo, s50
	s_and_b32 s50, exec_lo, s49
	s_or_b32 s47, s50, s47
	s_andn2_b32 s46, s46, exec_lo
	s_and_b32 s50, s48, exec_lo
	s_or_b32 s46, s46, s50
	s_andn2_b32 exec_lo, exec_lo, s47
	s_cbranch_execz .LBB47_46
.LBB47_44:                              ;   Parent Loop BB47_4 Depth=1
                                        ;     Parent Loop BB47_8 Depth=2
                                        ; =>    This Inner Loop Header: Depth=3
	v_add_nc_u32_e32 v11, v6, v2
	s_or_b32 s48, s48, exec_lo
	s_or_b32 s49, s49, exec_lo
	s_mov_b32 s50, exec_lo
	v_ashrrev_i32_e32 v12, 31, v11
	v_lshlrev_b64 v[15:16], 2, v[11:12]
	v_add_co_u32 v15, vcc_lo, s20, v15
	v_add_co_ci_u32_e64 v16, null, s21, v16, vcc_lo
	global_load_dword v5, v[15:16], off
	s_waitcnt vmcnt(0)
	v_subrev_nc_u32_e32 v5, s40, v5
	v_cmpx_ne_u32_e64 v5, v7
	s_cbranch_execz .LBB47_43
; %bb.45:                               ;   in Loop: Header=BB47_44 Depth=3
	v_add_nc_u32_e32 v2, 1, v2
	s_andn2_b32 s49, s49, exec_lo
	s_andn2_b32 s48, s48, exec_lo
	v_cmp_ge_i32_e32 vcc_lo, v2, v22
	s_and_b32 s51, vcc_lo, exec_lo
	s_or_b32 s49, s49, s51
	s_branch .LBB47_43
.LBB47_46:                              ;   in Loop: Header=BB47_8 Depth=2
	s_inst_prefetch 0x2
	s_or_b32 exec_lo, exec_lo, s47
	s_mov_b32 s47, s44
                                        ; implicit-def: $vgpr15_vgpr16
	s_and_saveexec_b32 s48, s46
	s_xor_b32 s46, exec_lo, s48
	s_cbranch_execz .LBB47_48
; %bb.47:                               ;   in Loop: Header=BB47_8 Depth=2
	v_lshlrev_b64 v[7:8], 4, v[11:12]
	s_or_b32 s47, s44, exec_lo
	v_add_co_u32 v15, vcc_lo, s2, v7
	v_add_co_ci_u32_e64 v16, null, s3, v8, vcc_lo
	global_store_dwordx2 v[15:16], v[13:14], off
.LBB47_48:                              ;   in Loop: Header=BB47_8 Depth=2
	s_or_b32 exec_lo, exec_lo, s46
	s_andn2_b32 s46, s44, exec_lo
	s_and_b32 s47, s47, exec_lo
	s_or_b32 s46, s46, s47
.LBB47_49:                              ;   in Loop: Header=BB47_8 Depth=2
	s_or_b32 exec_lo, exec_lo, s45
	s_andn2_b32 s44, s44, exec_lo
	s_and_b32 s45, s46, exec_lo
	s_or_b32 s44, s44, s45
	s_or_b32 exec_lo, exec_lo, s1
	s_and_b32 exec_lo, exec_lo, s44
	s_cbranch_execz .LBB47_7
.LBB47_50:                              ;   in Loop: Header=BB47_8 Depth=2
	global_store_dwordx2 v[15:16], v[9:10], off offset:8
	s_branch .LBB47_7
.LBB47_51:
	s_endpgm
	.section	.rodata,"a",@progbits
	.p2align	6, 0x0
	.amdhsa_kernel _ZN9rocsparseL17kernel_correctionILi1024ELi32E21rocsparse_complex_numIdEiiEEvT3_T2_PKS4_S6_PKS3_PKT1_21rocsparse_index_base_S6_S6_S8_SB_PS9_SC_S6_S6_S8_SB_SD_SC_SB_SD_
		.amdhsa_group_segment_fixed_size 0
		.amdhsa_private_segment_fixed_size 0
		.amdhsa_kernarg_size 160
		.amdhsa_user_sgpr_count 6
		.amdhsa_user_sgpr_private_segment_buffer 1
		.amdhsa_user_sgpr_dispatch_ptr 0
		.amdhsa_user_sgpr_queue_ptr 0
		.amdhsa_user_sgpr_kernarg_segment_ptr 1
		.amdhsa_user_sgpr_dispatch_id 0
		.amdhsa_user_sgpr_flat_scratch_init 0
		.amdhsa_user_sgpr_private_segment_size 0
		.amdhsa_wavefront_size32 1
		.amdhsa_uses_dynamic_stack 0
		.amdhsa_system_sgpr_private_segment_wavefront_offset 0
		.amdhsa_system_sgpr_workgroup_id_x 1
		.amdhsa_system_sgpr_workgroup_id_y 0
		.amdhsa_system_sgpr_workgroup_id_z 0
		.amdhsa_system_sgpr_workgroup_info 0
		.amdhsa_system_vgpr_workitem_id 0
		.amdhsa_next_free_vgpr 37
		.amdhsa_next_free_sgpr 53
		.amdhsa_reserve_vcc 1
		.amdhsa_reserve_flat_scratch 0
		.amdhsa_float_round_mode_32 0
		.amdhsa_float_round_mode_16_64 0
		.amdhsa_float_denorm_mode_32 3
		.amdhsa_float_denorm_mode_16_64 3
		.amdhsa_dx10_clamp 1
		.amdhsa_ieee_mode 1
		.amdhsa_fp16_overflow 0
		.amdhsa_workgroup_processor_mode 1
		.amdhsa_memory_ordered 1
		.amdhsa_forward_progress 1
		.amdhsa_shared_vgpr_count 0
		.amdhsa_exception_fp_ieee_invalid_op 0
		.amdhsa_exception_fp_denorm_src 0
		.amdhsa_exception_fp_ieee_div_zero 0
		.amdhsa_exception_fp_ieee_overflow 0
		.amdhsa_exception_fp_ieee_underflow 0
		.amdhsa_exception_fp_ieee_inexact 0
		.amdhsa_exception_int_div_zero 0
	.end_amdhsa_kernel
	.section	.text._ZN9rocsparseL17kernel_correctionILi1024ELi32E21rocsparse_complex_numIdEiiEEvT3_T2_PKS4_S6_PKS3_PKT1_21rocsparse_index_base_S6_S6_S8_SB_PS9_SC_S6_S6_S8_SB_SD_SC_SB_SD_,"axG",@progbits,_ZN9rocsparseL17kernel_correctionILi1024ELi32E21rocsparse_complex_numIdEiiEEvT3_T2_PKS4_S6_PKS3_PKT1_21rocsparse_index_base_S6_S6_S8_SB_PS9_SC_S6_S6_S8_SB_SD_SC_SB_SD_,comdat
.Lfunc_end47:
	.size	_ZN9rocsparseL17kernel_correctionILi1024ELi32E21rocsparse_complex_numIdEiiEEvT3_T2_PKS4_S6_PKS3_PKT1_21rocsparse_index_base_S6_S6_S8_SB_PS9_SC_S6_S6_S8_SB_SD_SC_SB_SD_, .Lfunc_end47-_ZN9rocsparseL17kernel_correctionILi1024ELi32E21rocsparse_complex_numIdEiiEEvT3_T2_PKS4_S6_PKS3_PKT1_21rocsparse_index_base_S6_S6_S8_SB_PS9_SC_S6_S6_S8_SB_SD_SC_SB_SD_
                                        ; -- End function
	.set _ZN9rocsparseL17kernel_correctionILi1024ELi32E21rocsparse_complex_numIdEiiEEvT3_T2_PKS4_S6_PKS3_PKT1_21rocsparse_index_base_S6_S6_S8_SB_PS9_SC_S6_S6_S8_SB_SD_SC_SB_SD_.num_vgpr, 37
	.set _ZN9rocsparseL17kernel_correctionILi1024ELi32E21rocsparse_complex_numIdEiiEEvT3_T2_PKS4_S6_PKS3_PKT1_21rocsparse_index_base_S6_S6_S8_SB_PS9_SC_S6_S6_S8_SB_SD_SC_SB_SD_.num_agpr, 0
	.set _ZN9rocsparseL17kernel_correctionILi1024ELi32E21rocsparse_complex_numIdEiiEEvT3_T2_PKS4_S6_PKS3_PKT1_21rocsparse_index_base_S6_S6_S8_SB_PS9_SC_S6_S6_S8_SB_SD_SC_SB_SD_.numbered_sgpr, 53
	.set _ZN9rocsparseL17kernel_correctionILi1024ELi32E21rocsparse_complex_numIdEiiEEvT3_T2_PKS4_S6_PKS3_PKT1_21rocsparse_index_base_S6_S6_S8_SB_PS9_SC_S6_S6_S8_SB_SD_SC_SB_SD_.num_named_barrier, 0
	.set _ZN9rocsparseL17kernel_correctionILi1024ELi32E21rocsparse_complex_numIdEiiEEvT3_T2_PKS4_S6_PKS3_PKT1_21rocsparse_index_base_S6_S6_S8_SB_PS9_SC_S6_S6_S8_SB_SD_SC_SB_SD_.private_seg_size, 0
	.set _ZN9rocsparseL17kernel_correctionILi1024ELi32E21rocsparse_complex_numIdEiiEEvT3_T2_PKS4_S6_PKS3_PKT1_21rocsparse_index_base_S6_S6_S8_SB_PS9_SC_S6_S6_S8_SB_SD_SC_SB_SD_.uses_vcc, 1
	.set _ZN9rocsparseL17kernel_correctionILi1024ELi32E21rocsparse_complex_numIdEiiEEvT3_T2_PKS4_S6_PKS3_PKT1_21rocsparse_index_base_S6_S6_S8_SB_PS9_SC_S6_S6_S8_SB_SD_SC_SB_SD_.uses_flat_scratch, 0
	.set _ZN9rocsparseL17kernel_correctionILi1024ELi32E21rocsparse_complex_numIdEiiEEvT3_T2_PKS4_S6_PKS3_PKT1_21rocsparse_index_base_S6_S6_S8_SB_PS9_SC_S6_S6_S8_SB_SD_SC_SB_SD_.has_dyn_sized_stack, 0
	.set _ZN9rocsparseL17kernel_correctionILi1024ELi32E21rocsparse_complex_numIdEiiEEvT3_T2_PKS4_S6_PKS3_PKT1_21rocsparse_index_base_S6_S6_S8_SB_PS9_SC_S6_S6_S8_SB_SD_SC_SB_SD_.has_recursion, 0
	.set _ZN9rocsparseL17kernel_correctionILi1024ELi32E21rocsparse_complex_numIdEiiEEvT3_T2_PKS4_S6_PKS3_PKT1_21rocsparse_index_base_S6_S6_S8_SB_PS9_SC_S6_S6_S8_SB_SD_SC_SB_SD_.has_indirect_call, 0
	.section	.AMDGPU.csdata,"",@progbits
; Kernel info:
; codeLenInByte = 2620
; TotalNumSgprs: 55
; NumVgprs: 37
; ScratchSize: 0
; MemoryBound: 1
; FloatMode: 240
; IeeeMode: 1
; LDSByteSize: 0 bytes/workgroup (compile time only)
; SGPRBlocks: 0
; VGPRBlocks: 4
; NumSGPRsForWavesPerEU: 55
; NumVGPRsForWavesPerEU: 37
; Occupancy: 16
; WaveLimiterHint : 1
; COMPUTE_PGM_RSRC2:SCRATCH_EN: 0
; COMPUTE_PGM_RSRC2:USER_SGPR: 6
; COMPUTE_PGM_RSRC2:TRAP_HANDLER: 0
; COMPUTE_PGM_RSRC2:TGID_X_EN: 1
; COMPUTE_PGM_RSRC2:TGID_Y_EN: 0
; COMPUTE_PGM_RSRC2:TGID_Z_EN: 0
; COMPUTE_PGM_RSRC2:TIDIG_COMP_CNT: 0
	.section	.text._ZN9rocsparseL17kernel_correctionILi1024ELi64E21rocsparse_complex_numIdEiiEEvT3_T2_PKS4_S6_PKS3_PKT1_21rocsparse_index_base_S6_S6_S8_SB_PS9_SC_S6_S6_S8_SB_SD_SC_SB_SD_,"axG",@progbits,_ZN9rocsparseL17kernel_correctionILi1024ELi64E21rocsparse_complex_numIdEiiEEvT3_T2_PKS4_S6_PKS3_PKT1_21rocsparse_index_base_S6_S6_S8_SB_PS9_SC_S6_S6_S8_SB_SD_SC_SB_SD_,comdat
	.globl	_ZN9rocsparseL17kernel_correctionILi1024ELi64E21rocsparse_complex_numIdEiiEEvT3_T2_PKS4_S6_PKS3_PKT1_21rocsparse_index_base_S6_S6_S8_SB_PS9_SC_S6_S6_S8_SB_SD_SC_SB_SD_ ; -- Begin function _ZN9rocsparseL17kernel_correctionILi1024ELi64E21rocsparse_complex_numIdEiiEEvT3_T2_PKS4_S6_PKS3_PKT1_21rocsparse_index_base_S6_S6_S8_SB_PS9_SC_S6_S6_S8_SB_SD_SC_SB_SD_
	.p2align	8
	.type	_ZN9rocsparseL17kernel_correctionILi1024ELi64E21rocsparse_complex_numIdEiiEEvT3_T2_PKS4_S6_PKS3_PKT1_21rocsparse_index_base_S6_S6_S8_SB_PS9_SC_S6_S6_S8_SB_SD_SC_SB_SD_,@function
_ZN9rocsparseL17kernel_correctionILi1024ELi64E21rocsparse_complex_numIdEiiEEvT3_T2_PKS4_S6_PKS3_PKT1_21rocsparse_index_base_S6_S6_S8_SB_PS9_SC_S6_S6_S8_SB_SD_SC_SB_SD_: ; @_ZN9rocsparseL17kernel_correctionILi1024ELi64E21rocsparse_complex_numIdEiiEEvT3_T2_PKS4_S6_PKS3_PKT1_21rocsparse_index_base_S6_S6_S8_SB_PS9_SC_S6_S6_S8_SB_SD_SC_SB_SD_
; %bb.0:
	s_load_dword s33, s[4:5], 0x0
	v_lshrrev_b32_e32 v1, 6, v0
	s_lshl_b32 s34, s6, 10
	s_mov_b32 s0, exec_lo
	v_or_b32_e32 v1, s34, v1
	s_waitcnt lgkmcnt(0)
	v_cmpx_gt_i32_e64 s33, v1
	s_cbranch_execz .LBB48_51
; %bb.1:
	s_addk_i32 s34, 0x400
	v_cmp_gt_u32_e32 vcc_lo, s34, v1
	s_and_b32 exec_lo, exec_lo, vcc_lo
	s_cbranch_execz .LBB48_51
; %bb.2:
	s_clause 0x8
	s_load_dwordx4 s[36:39], s[4:5], 0x90
	s_load_dwordx8 s[8:15], s[4:5], 0x60
	s_load_dword s35, s[4:5], 0x28
	s_load_dwordx8 s[16:23], s[4:5], 0x30
	s_load_dwordx8 s[24:31], s[4:5], 0x8
	s_load_dwordx2 s[2:3], s[4:5], 0x50
	s_load_dword s40, s[4:5], 0x58
	s_load_dwordx2 s[6:7], s[4:5], 0x80
	s_load_dword s4, s[4:5], 0x88
	v_and_b32_e32 v0, 63, v0
	v_mov_b32_e32 v3, 0
	s_mov_b32 s5, 0
	s_waitcnt lgkmcnt(0)
	v_subrev_nc_u32_e32 v0, s35, v0
	s_branch .LBB48_4
.LBB48_3:                               ;   in Loop: Header=BB48_4 Depth=1
	s_or_b32 exec_lo, exec_lo, s41
	v_add_nc_u32_e32 v1, 16, v1
	v_cmp_le_u32_e32 vcc_lo, s34, v1
	s_or_b32 s5, vcc_lo, s5
	s_andn2_b32 exec_lo, exec_lo, s5
	s_cbranch_execz .LBB48_51
.LBB48_4:                               ; =>This Loop Header: Depth=1
                                        ;     Child Loop BB48_8 Depth 2
                                        ;       Child Loop BB48_12 Depth 3
                                        ;       Child Loop BB48_34 Depth 3
	;; [unrolled: 1-line block ×3, first 2 shown]
	s_mov_b32 s41, exec_lo
	v_cmpx_gt_i32_e64 s33, v1
	s_cbranch_execz .LBB48_3
; %bb.5:                                ;   in Loop: Header=BB48_4 Depth=1
	v_ashrrev_i32_e32 v2, 31, v1
	v_lshlrev_b64 v[5:6], 2, v[1:2]
	v_add_co_u32 v7, vcc_lo, s24, v5
	v_add_co_ci_u32_e64 v8, null, s25, v6, vcc_lo
	v_add_co_u32 v9, vcc_lo, s26, v5
	v_add_co_ci_u32_e64 v10, null, s27, v6, vcc_lo
	global_load_dword v2, v[7:8], off
	global_load_dword v7, v[9:10], off
	s_waitcnt vmcnt(1)
	v_add_nc_u32_e32 v4, v0, v2
	s_waitcnt vmcnt(0)
	v_subrev_nc_u32_e32 v21, s35, v7
	v_cmp_lt_i32_e32 vcc_lo, v4, v21
	s_and_b32 exec_lo, exec_lo, vcc_lo
	s_cbranch_execz .LBB48_3
; %bb.6:                                ;   in Loop: Header=BB48_4 Depth=1
	v_add_co_u32 v7, vcc_lo, s16, v5
	v_add_co_ci_u32_e64 v8, null, s17, v6, vcc_lo
	v_add_co_u32 v5, vcc_lo, s18, v5
	v_add_co_ci_u32_e64 v6, null, s19, v6, vcc_lo
	global_load_dword v2, v[7:8], off
	s_mov_b32 s42, 0
	global_load_dword v5, v[5:6], off
	s_waitcnt vmcnt(1)
	v_subrev_nc_u32_e32 v6, s40, v2
	s_waitcnt vmcnt(0)
	v_sub_nc_u32_e32 v22, v5, v2
	v_ashrrev_i32_e32 v7, 31, v6
	v_cmp_lt_i32_e64 s0, 0, v22
	v_lshlrev_b64 v[8:9], 2, v[6:7]
	v_lshlrev_b64 v[10:11], 4, v[6:7]
	v_add_co_u32 v23, vcc_lo, s20, v8
	v_add_co_ci_u32_e64 v24, null, s21, v9, vcc_lo
	v_add_co_u32 v25, vcc_lo, s22, v10
	v_add_co_ci_u32_e64 v26, null, s23, v11, vcc_lo
	s_branch .LBB48_8
.LBB48_7:                               ;   in Loop: Header=BB48_8 Depth=2
	s_or_b32 exec_lo, exec_lo, s43
	v_add_nc_u32_e32 v4, 64, v4
	v_cmp_ge_i32_e32 vcc_lo, v4, v21
	s_or_b32 s42, vcc_lo, s42
	s_andn2_b32 exec_lo, exec_lo, s42
	s_cbranch_execz .LBB48_3
.LBB48_8:                               ;   Parent Loop BB48_4 Depth=1
                                        ; =>  This Loop Header: Depth=2
                                        ;       Child Loop BB48_12 Depth 3
                                        ;       Child Loop BB48_34 Depth 3
	;; [unrolled: 1-line block ×3, first 2 shown]
	v_ashrrev_i32_e32 v5, 31, v4
	v_mov_b32_e32 v15, 0
	v_mov_b32_e32 v16, 0
	v_lshlrev_b64 v[7:8], 2, v[4:5]
	v_add_co_u32 v7, vcc_lo, s28, v7
	v_add_co_ci_u32_e64 v8, null, s29, v8, vcc_lo
	global_load_dword v2, v[7:8], off
	s_waitcnt vmcnt(0)
	v_subrev_nc_u32_e32 v7, s35, v2
	v_mov_b32_e32 v2, 0
	v_ashrrev_i32_e32 v8, 31, v7
	v_lshlrev_b64 v[9:10], 2, v[7:8]
	v_add_co_u32 v11, vcc_lo, s8, v9
	v_add_co_ci_u32_e64 v12, null, s9, v10, vcc_lo
	v_add_co_u32 v9, vcc_lo, s10, v9
	v_add_co_ci_u32_e64 v10, null, s11, v10, vcc_lo
	global_load_dword v12, v[11:12], off
	global_load_dword v13, v[9:10], off
	v_mov_b32_e32 v9, 0
	v_mov_b32_e32 v10, 0
	s_waitcnt vmcnt(1)
	v_subrev_nc_u32_e32 v11, s4, v12
	s_waitcnt vmcnt(0)
	v_sub_nc_u32_e32 v27, v13, v12
	v_mov_b32_e32 v12, v2
	s_and_saveexec_b32 s43, s0
	s_cbranch_execz .LBB48_16
; %bb.9:                                ;   in Loop: Header=BB48_8 Depth=2
	v_ashrrev_i32_e32 v12, 31, v11
	v_mov_b32_e32 v9, 0
	v_mov_b32_e32 v10, 0
	;; [unrolled: 1-line block ×3, first 2 shown]
	s_mov_b32 s44, 0
	v_lshlrev_b64 v[14:15], 2, v[11:12]
	v_lshlrev_b64 v[12:13], 4, v[11:12]
                                        ; implicit-def: $sgpr45
	v_add_co_u32 v14, vcc_lo, s12, v14
	v_add_co_ci_u32_e64 v17, null, s13, v15, vcc_lo
	v_add_co_u32 v18, vcc_lo, s14, v12
	v_mov_b32_e32 v15, 0
	v_add_co_ci_u32_e64 v19, null, s15, v13, vcc_lo
	v_mov_b32_e32 v12, 0
	v_mov_b32_e32 v16, 0
	s_branch .LBB48_12
.LBB48_10:                              ;   in Loop: Header=BB48_12 Depth=3
	s_or_b32 exec_lo, exec_lo, s1
	v_cmp_le_i32_e32 vcc_lo, v20, v28
	v_cmp_ge_i32_e64 s1, v20, v28
	v_add_co_ci_u32_e64 v2, null, 0, v2, vcc_lo
	v_add_co_ci_u32_e64 v12, null, 0, v12, s1
	s_andn2_b32 s1, s45, exec_lo
	v_cmp_ge_i32_e32 vcc_lo, v2, v22
	s_and_b32 s45, vcc_lo, exec_lo
	s_or_b32 s45, s1, s45
.LBB48_11:                              ;   in Loop: Header=BB48_12 Depth=3
	s_or_b32 exec_lo, exec_lo, s46
	s_and_b32 s1, exec_lo, s45
	s_or_b32 s44, s1, s44
	s_andn2_b32 exec_lo, exec_lo, s44
	s_cbranch_execz .LBB48_15
.LBB48_12:                              ;   Parent Loop BB48_4 Depth=1
                                        ;     Parent Loop BB48_8 Depth=2
                                        ; =>    This Inner Loop Header: Depth=3
	s_or_b32 s45, s45, exec_lo
	s_mov_b32 s46, exec_lo
	v_cmpx_lt_i32_e64 v12, v27
	s_cbranch_execz .LBB48_11
; %bb.13:                               ;   in Loop: Header=BB48_12 Depth=3
	v_mov_b32_e32 v13, v3
	v_lshlrev_b64 v[28:29], 2, v[2:3]
	s_mov_b32 s1, exec_lo
	v_lshlrev_b64 v[30:31], 2, v[12:13]
	v_add_co_u32 v28, vcc_lo, v23, v28
	v_add_co_ci_u32_e64 v29, null, v24, v29, vcc_lo
	v_add_co_u32 v30, vcc_lo, v14, v30
	v_add_co_ci_u32_e64 v31, null, v17, v31, vcc_lo
	global_load_dword v20, v[28:29], off
	global_load_dword v28, v[30:31], off
	s_waitcnt vmcnt(1)
	v_subrev_nc_u32_e32 v20, s40, v20
	s_waitcnt vmcnt(0)
	v_subrev_nc_u32_e32 v28, s4, v28
	v_cmpx_eq_u32_e64 v20, v28
	s_cbranch_execz .LBB48_10
; %bb.14:                               ;   in Loop: Header=BB48_12 Depth=3
	v_lshlrev_b64 v[29:30], 4, v[2:3]
	v_lshlrev_b64 v[31:32], 4, v[12:13]
	v_add_co_u32 v29, vcc_lo, v25, v29
	v_add_co_ci_u32_e64 v30, null, v26, v30, vcc_lo
	v_add_co_u32 v33, vcc_lo, v18, v31
	v_add_co_ci_u32_e64 v34, null, v19, v32, vcc_lo
	global_load_dwordx4 v[29:32], v[29:30], off
	global_load_dwordx4 v[33:36], v[33:34], off
	s_waitcnt vmcnt(0)
	v_fma_f64 v[9:10], v[29:30], v[33:34], v[9:10]
	v_fma_f64 v[15:16], v[31:32], v[33:34], v[15:16]
	v_fma_f64 v[9:10], -v[31:32], v[35:36], v[9:10]
	v_fma_f64 v[15:16], v[29:30], v[35:36], v[15:16]
	s_branch .LBB48_10
.LBB48_15:                              ;   in Loop: Header=BB48_8 Depth=2
	s_or_b32 exec_lo, exec_lo, s44
.LBB48_16:                              ;   in Loop: Header=BB48_8 Depth=2
	s_or_b32 exec_lo, exec_lo, s43
	v_lshlrev_b64 v[13:14], 4, v[4:5]
	v_cmp_le_i32_e64 s1, v1, v7
	s_mov_b32 s43, exec_lo
	v_add_co_u32 v13, vcc_lo, s30, v13
	v_add_co_ci_u32_e64 v14, null, s31, v14, vcc_lo
	global_load_dwordx4 v[17:20], v[13:14], off
	s_waitcnt vmcnt(0)
	v_add_f64 v[13:14], v[17:18], -v[9:10]
	v_add_f64 v[9:10], v[19:20], -v[15:16]
	v_cmpx_gt_i32_e64 v1, v7
	s_cbranch_execz .LBB48_18
; %bb.17:                               ;   in Loop: Header=BB48_8 Depth=2
	v_lshlrev_b64 v[15:16], 4, v[7:8]
	v_add_co_u32 v15, vcc_lo, s36, v15
	v_add_co_ci_u32_e64 v16, null, s37, v16, vcc_lo
	global_load_dwordx4 v[15:18], v[15:16], off
	s_waitcnt vmcnt(0)
	v_mul_f64 v[19:20], v[17:18], v[17:18]
	v_fma_f64 v[19:20], v[15:16], v[15:16], v[19:20]
	v_div_scale_f64 v[28:29], null, v[19:20], v[19:20], 1.0
	v_div_scale_f64 v[34:35], vcc_lo, 1.0, v[19:20], 1.0
	v_rcp_f64_e32 v[30:31], v[28:29]
	v_fma_f64 v[32:33], -v[28:29], v[30:31], 1.0
	v_fma_f64 v[30:31], v[30:31], v[32:33], v[30:31]
	v_fma_f64 v[32:33], -v[28:29], v[30:31], 1.0
	v_fma_f64 v[30:31], v[30:31], v[32:33], v[30:31]
	v_mul_f64 v[32:33], v[34:35], v[30:31]
	v_fma_f64 v[28:29], -v[28:29], v[32:33], v[34:35]
	v_div_fmas_f64 v[28:29], v[28:29], v[30:31], v[32:33]
	v_mul_f64 v[30:31], v[9:10], v[17:18]
	v_mul_f64 v[17:18], v[17:18], -v[13:14]
	v_div_fixup_f64 v[19:20], v[28:29], v[19:20], 1.0
	v_fma_f64 v[13:14], v[13:14], v[15:16], v[30:31]
	v_fma_f64 v[9:10], v[9:10], v[15:16], v[17:18]
	v_mul_f64 v[13:14], v[13:14], v[19:20]
	v_mul_f64 v[9:10], v[9:10], v[19:20]
.LBB48_18:                              ;   in Loop: Header=BB48_8 Depth=2
	s_or_b32 exec_lo, exec_lo, s43
	v_cmp_gt_f64_e32 vcc_lo, 0, v[13:14]
	v_xor_b32_e32 v5, 0x80000000, v14
	v_xor_b32_e32 v17, 0x80000000, v10
	v_mov_b32_e32 v15, v13
	s_mov_b32 s43, exec_lo
                                        ; implicit-def: $vgpr19_vgpr20
	v_cndmask_b32_e32 v16, v14, v5, vcc_lo
	v_cmp_gt_f64_e32 vcc_lo, 0, v[9:10]
	v_cndmask_b32_e32 v18, v10, v17, vcc_lo
	v_mov_b32_e32 v17, v9
	v_cmpx_ngt_f64_e32 v[15:16], v[17:18]
	s_xor_b32 s43, exec_lo, s43
	s_cbranch_execnz .LBB48_21
; %bb.19:                               ;   in Loop: Header=BB48_8 Depth=2
	s_andn2_saveexec_b32 s43, s43
	s_cbranch_execnz .LBB48_24
.LBB48_20:                              ;   in Loop: Header=BB48_8 Depth=2
	s_or_b32 exec_lo, exec_lo, s43
	v_cmp_class_f64_e64 s44, v[19:20], 0x1f8
	s_and_saveexec_b32 s43, s44
	s_cbranch_execz .LBB48_7
	s_branch .LBB48_25
.LBB48_21:                              ;   in Loop: Header=BB48_8 Depth=2
	v_mov_b32_e32 v19, 0
	v_mov_b32_e32 v20, 0
	s_mov_b32 s44, exec_lo
	v_cmpx_neq_f64_e32 0, v[9:10]
	s_cbranch_execz .LBB48_23
; %bb.22:                               ;   in Loop: Header=BB48_8 Depth=2
	v_div_scale_f64 v[19:20], null, v[17:18], v[17:18], v[15:16]
	v_div_scale_f64 v[32:33], vcc_lo, v[15:16], v[17:18], v[15:16]
	v_rcp_f64_e32 v[28:29], v[19:20]
	v_fma_f64 v[30:31], -v[19:20], v[28:29], 1.0
	v_fma_f64 v[28:29], v[28:29], v[30:31], v[28:29]
	v_fma_f64 v[30:31], -v[19:20], v[28:29], 1.0
	v_fma_f64 v[28:29], v[28:29], v[30:31], v[28:29]
	v_mul_f64 v[30:31], v[32:33], v[28:29]
	v_fma_f64 v[19:20], -v[19:20], v[30:31], v[32:33]
	v_div_fmas_f64 v[19:20], v[19:20], v[28:29], v[30:31]
	v_div_fixup_f64 v[15:16], v[19:20], v[17:18], v[15:16]
	v_fma_f64 v[15:16], v[15:16], v[15:16], 1.0
	v_cmp_gt_f64_e32 vcc_lo, 0x10000000, v[15:16]
	v_cndmask_b32_e64 v5, 0, 0x100, vcc_lo
	v_ldexp_f64 v[15:16], v[15:16], v5
	v_cndmask_b32_e64 v5, 0, 0xffffff80, vcc_lo
	v_rsq_f64_e32 v[19:20], v[15:16]
	v_cmp_class_f64_e64 vcc_lo, v[15:16], 0x260
	v_mul_f64 v[28:29], v[15:16], v[19:20]
	v_mul_f64 v[19:20], v[19:20], 0.5
	v_fma_f64 v[30:31], -v[19:20], v[28:29], 0.5
	v_fma_f64 v[28:29], v[28:29], v[30:31], v[28:29]
	v_fma_f64 v[19:20], v[19:20], v[30:31], v[19:20]
	v_fma_f64 v[30:31], -v[28:29], v[28:29], v[15:16]
	v_fma_f64 v[28:29], v[30:31], v[19:20], v[28:29]
	v_fma_f64 v[30:31], -v[28:29], v[28:29], v[15:16]
	v_fma_f64 v[19:20], v[30:31], v[19:20], v[28:29]
	v_ldexp_f64 v[19:20], v[19:20], v5
	v_cndmask_b32_e32 v16, v20, v16, vcc_lo
	v_cndmask_b32_e32 v15, v19, v15, vcc_lo
	v_mul_f64 v[19:20], v[17:18], v[15:16]
.LBB48_23:                              ;   in Loop: Header=BB48_8 Depth=2
	s_or_b32 exec_lo, exec_lo, s44
                                        ; implicit-def: $vgpr15_vgpr16
                                        ; implicit-def: $vgpr17_vgpr18
	s_andn2_saveexec_b32 s43, s43
	s_cbranch_execz .LBB48_20
.LBB48_24:                              ;   in Loop: Header=BB48_8 Depth=2
	v_div_scale_f64 v[19:20], null, v[15:16], v[15:16], v[17:18]
	v_div_scale_f64 v[32:33], vcc_lo, v[17:18], v[15:16], v[17:18]
	v_rcp_f64_e32 v[28:29], v[19:20]
	v_fma_f64 v[30:31], -v[19:20], v[28:29], 1.0
	v_fma_f64 v[28:29], v[28:29], v[30:31], v[28:29]
	v_fma_f64 v[30:31], -v[19:20], v[28:29], 1.0
	v_fma_f64 v[28:29], v[28:29], v[30:31], v[28:29]
	v_mul_f64 v[30:31], v[32:33], v[28:29]
	v_fma_f64 v[19:20], -v[19:20], v[30:31], v[32:33]
	v_div_fmas_f64 v[19:20], v[19:20], v[28:29], v[30:31]
	v_div_fixup_f64 v[17:18], v[19:20], v[15:16], v[17:18]
	v_fma_f64 v[17:18], v[17:18], v[17:18], 1.0
	v_cmp_gt_f64_e32 vcc_lo, 0x10000000, v[17:18]
	v_cndmask_b32_e64 v5, 0, 0x100, vcc_lo
	v_ldexp_f64 v[17:18], v[17:18], v5
	v_cndmask_b32_e64 v5, 0, 0xffffff80, vcc_lo
	v_rsq_f64_e32 v[19:20], v[17:18]
	v_cmp_class_f64_e64 vcc_lo, v[17:18], 0x260
	v_mul_f64 v[28:29], v[17:18], v[19:20]
	v_mul_f64 v[19:20], v[19:20], 0.5
	v_fma_f64 v[30:31], -v[19:20], v[28:29], 0.5
	v_fma_f64 v[28:29], v[28:29], v[30:31], v[28:29]
	v_fma_f64 v[19:20], v[19:20], v[30:31], v[19:20]
	v_fma_f64 v[30:31], -v[28:29], v[28:29], v[17:18]
	v_fma_f64 v[28:29], v[30:31], v[19:20], v[28:29]
	v_fma_f64 v[30:31], -v[28:29], v[28:29], v[17:18]
	v_fma_f64 v[19:20], v[30:31], v[19:20], v[28:29]
	v_ldexp_f64 v[19:20], v[19:20], v5
	v_cndmask_b32_e32 v18, v20, v18, vcc_lo
	v_cndmask_b32_e32 v17, v19, v17, vcc_lo
	v_mul_f64 v[19:20], v[15:16], v[17:18]
	s_or_b32 exec_lo, exec_lo, s43
	v_cmp_class_f64_e64 s44, v[19:20], 0x1f8
	s_and_saveexec_b32 s43, s44
	s_cbranch_execz .LBB48_7
.LBB48_25:                              ;   in Loop: Header=BB48_8 Depth=2
	s_mov_b32 s44, 0
                                        ; implicit-def: $vgpr15_vgpr16
	s_and_saveexec_b32 s45, s1
	s_xor_b32 s1, exec_lo, s45
	s_cbranch_execnz .LBB48_28
; %bb.26:                               ;   in Loop: Header=BB48_8 Depth=2
	s_andn2_saveexec_b32 s1, s1
	s_cbranch_execnz .LBB48_41
.LBB48_27:                              ;   in Loop: Header=BB48_8 Depth=2
	s_or_b32 exec_lo, exec_lo, s1
	s_and_b32 exec_lo, exec_lo, s44
	s_cbranch_execz .LBB48_7
	s_branch .LBB48_50
.LBB48_28:                              ;   in Loop: Header=BB48_8 Depth=2
	s_mov_b32 s45, exec_lo
                                        ; implicit-def: $vgpr15_vgpr16
	v_cmpx_ge_i32_e64 v1, v7
	s_xor_b32 s45, exec_lo, s45
	s_cbranch_execz .LBB48_30
; %bb.29:                               ;   in Loop: Header=BB48_8 Depth=2
	v_lshlrev_b64 v[7:8], 4, v[7:8]
	s_mov_b32 s44, exec_lo
                                        ; implicit-def: $vgpr12
                                        ; implicit-def: $vgpr27
                                        ; implicit-def: $vgpr11
	v_add_co_u32 v15, vcc_lo, s38, v7
	v_add_co_ci_u32_e64 v16, null, s39, v8, vcc_lo
	global_store_dwordx2 v[15:16], v[13:14], off
                                        ; implicit-def: $vgpr13_vgpr14
.LBB48_30:                              ;   in Loop: Header=BB48_8 Depth=2
	s_andn2_saveexec_b32 s45, s45
	s_cbranch_execz .LBB48_40
; %bb.31:                               ;   in Loop: Header=BB48_8 Depth=2
	s_mov_b32 s47, s44
	s_mov_b32 s46, exec_lo
                                        ; implicit-def: $vgpr15_vgpr16
	v_cmpx_lt_i32_e64 v12, v27
	s_cbranch_execz .LBB48_39
; %bb.32:                               ;   in Loop: Header=BB48_8 Depth=2
	s_mov_b32 s48, 0
                                        ; implicit-def: $sgpr47
                                        ; implicit-def: $sgpr50
                                        ; implicit-def: $sgpr49
	s_inst_prefetch 0x1
	s_branch .LBB48_34
	.p2align	6
.LBB48_33:                              ;   in Loop: Header=BB48_34 Depth=3
	s_or_b32 exec_lo, exec_lo, s51
	s_and_b32 s51, exec_lo, s50
	s_or_b32 s48, s51, s48
	s_andn2_b32 s47, s47, exec_lo
	s_and_b32 s51, s49, exec_lo
	s_or_b32 s47, s47, s51
	s_andn2_b32 exec_lo, exec_lo, s48
	s_cbranch_execz .LBB48_36
.LBB48_34:                              ;   Parent Loop BB48_4 Depth=1
                                        ;     Parent Loop BB48_8 Depth=2
                                        ; =>    This Inner Loop Header: Depth=3
	v_add_nc_u32_e32 v7, v11, v12
	s_or_b32 s49, s49, exec_lo
	s_or_b32 s50, s50, exec_lo
	s_mov_b32 s51, exec_lo
	v_ashrrev_i32_e32 v8, 31, v7
	v_lshlrev_b64 v[15:16], 2, v[7:8]
	v_add_co_u32 v15, vcc_lo, s12, v15
	v_add_co_ci_u32_e64 v16, null, s13, v16, vcc_lo
	global_load_dword v2, v[15:16], off
	s_waitcnt vmcnt(0)
	v_subrev_nc_u32_e32 v2, s4, v2
	v_cmpx_ne_u32_e64 v2, v1
	s_cbranch_execz .LBB48_33
; %bb.35:                               ;   in Loop: Header=BB48_34 Depth=3
	v_add_nc_u32_e32 v12, 1, v12
	s_andn2_b32 s50, s50, exec_lo
	s_andn2_b32 s49, s49, exec_lo
	v_cmp_ge_i32_e32 vcc_lo, v12, v27
	s_and_b32 s52, vcc_lo, exec_lo
	s_or_b32 s50, s50, s52
	s_branch .LBB48_33
.LBB48_36:                              ;   in Loop: Header=BB48_8 Depth=2
	s_inst_prefetch 0x2
	s_or_b32 exec_lo, exec_lo, s48
	s_mov_b32 s48, s44
                                        ; implicit-def: $vgpr15_vgpr16
	s_and_saveexec_b32 s49, s47
	s_xor_b32 s47, exec_lo, s49
	s_cbranch_execz .LBB48_38
; %bb.37:                               ;   in Loop: Header=BB48_8 Depth=2
	v_lshlrev_b64 v[7:8], 4, v[7:8]
	s_or_b32 s48, s44, exec_lo
	v_add_co_u32 v15, vcc_lo, s6, v7
	v_add_co_ci_u32_e64 v16, null, s7, v8, vcc_lo
	global_store_dwordx2 v[15:16], v[13:14], off
.LBB48_38:                              ;   in Loop: Header=BB48_8 Depth=2
	s_or_b32 exec_lo, exec_lo, s47
	s_andn2_b32 s47, s44, exec_lo
	s_and_b32 s48, s48, exec_lo
	s_or_b32 s47, s47, s48
.LBB48_39:                              ;   in Loop: Header=BB48_8 Depth=2
	s_or_b32 exec_lo, exec_lo, s46
	s_andn2_b32 s44, s44, exec_lo
	s_and_b32 s46, s47, exec_lo
	s_or_b32 s44, s44, s46
.LBB48_40:                              ;   in Loop: Header=BB48_8 Depth=2
	s_or_b32 exec_lo, exec_lo, s45
	s_and_b32 s44, s44, exec_lo
                                        ; implicit-def: $vgpr13_vgpr14
                                        ; implicit-def: $vgpr7_vgpr8
	s_andn2_saveexec_b32 s1, s1
	s_cbranch_execz .LBB48_27
.LBB48_41:                              ;   in Loop: Header=BB48_8 Depth=2
	s_mov_b32 s46, s44
	s_mov_b32 s45, exec_lo
                                        ; implicit-def: $vgpr15_vgpr16
	v_cmpx_lt_i32_e64 v2, v22
	s_cbranch_execz .LBB48_49
; %bb.42:                               ;   in Loop: Header=BB48_8 Depth=2
	s_mov_b32 s47, 0
                                        ; implicit-def: $sgpr46
                                        ; implicit-def: $sgpr49
                                        ; implicit-def: $sgpr48
	s_inst_prefetch 0x1
	s_branch .LBB48_44
	.p2align	6
.LBB48_43:                              ;   in Loop: Header=BB48_44 Depth=3
	s_or_b32 exec_lo, exec_lo, s50
	s_and_b32 s50, exec_lo, s49
	s_or_b32 s47, s50, s47
	s_andn2_b32 s46, s46, exec_lo
	s_and_b32 s50, s48, exec_lo
	s_or_b32 s46, s46, s50
	s_andn2_b32 exec_lo, exec_lo, s47
	s_cbranch_execz .LBB48_46
.LBB48_44:                              ;   Parent Loop BB48_4 Depth=1
                                        ;     Parent Loop BB48_8 Depth=2
                                        ; =>    This Inner Loop Header: Depth=3
	v_add_nc_u32_e32 v11, v6, v2
	s_or_b32 s48, s48, exec_lo
	s_or_b32 s49, s49, exec_lo
	s_mov_b32 s50, exec_lo
	v_ashrrev_i32_e32 v12, 31, v11
	v_lshlrev_b64 v[15:16], 2, v[11:12]
	v_add_co_u32 v15, vcc_lo, s20, v15
	v_add_co_ci_u32_e64 v16, null, s21, v16, vcc_lo
	global_load_dword v5, v[15:16], off
	s_waitcnt vmcnt(0)
	v_subrev_nc_u32_e32 v5, s40, v5
	v_cmpx_ne_u32_e64 v5, v7
	s_cbranch_execz .LBB48_43
; %bb.45:                               ;   in Loop: Header=BB48_44 Depth=3
	v_add_nc_u32_e32 v2, 1, v2
	s_andn2_b32 s49, s49, exec_lo
	s_andn2_b32 s48, s48, exec_lo
	v_cmp_ge_i32_e32 vcc_lo, v2, v22
	s_and_b32 s51, vcc_lo, exec_lo
	s_or_b32 s49, s49, s51
	s_branch .LBB48_43
.LBB48_46:                              ;   in Loop: Header=BB48_8 Depth=2
	s_inst_prefetch 0x2
	s_or_b32 exec_lo, exec_lo, s47
	s_mov_b32 s47, s44
                                        ; implicit-def: $vgpr15_vgpr16
	s_and_saveexec_b32 s48, s46
	s_xor_b32 s46, exec_lo, s48
	s_cbranch_execz .LBB48_48
; %bb.47:                               ;   in Loop: Header=BB48_8 Depth=2
	v_lshlrev_b64 v[7:8], 4, v[11:12]
	s_or_b32 s47, s44, exec_lo
	v_add_co_u32 v15, vcc_lo, s2, v7
	v_add_co_ci_u32_e64 v16, null, s3, v8, vcc_lo
	global_store_dwordx2 v[15:16], v[13:14], off
.LBB48_48:                              ;   in Loop: Header=BB48_8 Depth=2
	s_or_b32 exec_lo, exec_lo, s46
	s_andn2_b32 s46, s44, exec_lo
	s_and_b32 s47, s47, exec_lo
	s_or_b32 s46, s46, s47
.LBB48_49:                              ;   in Loop: Header=BB48_8 Depth=2
	s_or_b32 exec_lo, exec_lo, s45
	s_andn2_b32 s44, s44, exec_lo
	s_and_b32 s45, s46, exec_lo
	s_or_b32 s44, s44, s45
	s_or_b32 exec_lo, exec_lo, s1
	s_and_b32 exec_lo, exec_lo, s44
	s_cbranch_execz .LBB48_7
.LBB48_50:                              ;   in Loop: Header=BB48_8 Depth=2
	global_store_dwordx2 v[15:16], v[9:10], off offset:8
	s_branch .LBB48_7
.LBB48_51:
	s_endpgm
	.section	.rodata,"a",@progbits
	.p2align	6, 0x0
	.amdhsa_kernel _ZN9rocsparseL17kernel_correctionILi1024ELi64E21rocsparse_complex_numIdEiiEEvT3_T2_PKS4_S6_PKS3_PKT1_21rocsparse_index_base_S6_S6_S8_SB_PS9_SC_S6_S6_S8_SB_SD_SC_SB_SD_
		.amdhsa_group_segment_fixed_size 0
		.amdhsa_private_segment_fixed_size 0
		.amdhsa_kernarg_size 160
		.amdhsa_user_sgpr_count 6
		.amdhsa_user_sgpr_private_segment_buffer 1
		.amdhsa_user_sgpr_dispatch_ptr 0
		.amdhsa_user_sgpr_queue_ptr 0
		.amdhsa_user_sgpr_kernarg_segment_ptr 1
		.amdhsa_user_sgpr_dispatch_id 0
		.amdhsa_user_sgpr_flat_scratch_init 0
		.amdhsa_user_sgpr_private_segment_size 0
		.amdhsa_wavefront_size32 1
		.amdhsa_uses_dynamic_stack 0
		.amdhsa_system_sgpr_private_segment_wavefront_offset 0
		.amdhsa_system_sgpr_workgroup_id_x 1
		.amdhsa_system_sgpr_workgroup_id_y 0
		.amdhsa_system_sgpr_workgroup_id_z 0
		.amdhsa_system_sgpr_workgroup_info 0
		.amdhsa_system_vgpr_workitem_id 0
		.amdhsa_next_free_vgpr 37
		.amdhsa_next_free_sgpr 53
		.amdhsa_reserve_vcc 1
		.amdhsa_reserve_flat_scratch 0
		.amdhsa_float_round_mode_32 0
		.amdhsa_float_round_mode_16_64 0
		.amdhsa_float_denorm_mode_32 3
		.amdhsa_float_denorm_mode_16_64 3
		.amdhsa_dx10_clamp 1
		.amdhsa_ieee_mode 1
		.amdhsa_fp16_overflow 0
		.amdhsa_workgroup_processor_mode 1
		.amdhsa_memory_ordered 1
		.amdhsa_forward_progress 1
		.amdhsa_shared_vgpr_count 0
		.amdhsa_exception_fp_ieee_invalid_op 0
		.amdhsa_exception_fp_denorm_src 0
		.amdhsa_exception_fp_ieee_div_zero 0
		.amdhsa_exception_fp_ieee_overflow 0
		.amdhsa_exception_fp_ieee_underflow 0
		.amdhsa_exception_fp_ieee_inexact 0
		.amdhsa_exception_int_div_zero 0
	.end_amdhsa_kernel
	.section	.text._ZN9rocsparseL17kernel_correctionILi1024ELi64E21rocsparse_complex_numIdEiiEEvT3_T2_PKS4_S6_PKS3_PKT1_21rocsparse_index_base_S6_S6_S8_SB_PS9_SC_S6_S6_S8_SB_SD_SC_SB_SD_,"axG",@progbits,_ZN9rocsparseL17kernel_correctionILi1024ELi64E21rocsparse_complex_numIdEiiEEvT3_T2_PKS4_S6_PKS3_PKT1_21rocsparse_index_base_S6_S6_S8_SB_PS9_SC_S6_S6_S8_SB_SD_SC_SB_SD_,comdat
.Lfunc_end48:
	.size	_ZN9rocsparseL17kernel_correctionILi1024ELi64E21rocsparse_complex_numIdEiiEEvT3_T2_PKS4_S6_PKS3_PKT1_21rocsparse_index_base_S6_S6_S8_SB_PS9_SC_S6_S6_S8_SB_SD_SC_SB_SD_, .Lfunc_end48-_ZN9rocsparseL17kernel_correctionILi1024ELi64E21rocsparse_complex_numIdEiiEEvT3_T2_PKS4_S6_PKS3_PKT1_21rocsparse_index_base_S6_S6_S8_SB_PS9_SC_S6_S6_S8_SB_SD_SC_SB_SD_
                                        ; -- End function
	.set _ZN9rocsparseL17kernel_correctionILi1024ELi64E21rocsparse_complex_numIdEiiEEvT3_T2_PKS4_S6_PKS3_PKT1_21rocsparse_index_base_S6_S6_S8_SB_PS9_SC_S6_S6_S8_SB_SD_SC_SB_SD_.num_vgpr, 37
	.set _ZN9rocsparseL17kernel_correctionILi1024ELi64E21rocsparse_complex_numIdEiiEEvT3_T2_PKS4_S6_PKS3_PKT1_21rocsparse_index_base_S6_S6_S8_SB_PS9_SC_S6_S6_S8_SB_SD_SC_SB_SD_.num_agpr, 0
	.set _ZN9rocsparseL17kernel_correctionILi1024ELi64E21rocsparse_complex_numIdEiiEEvT3_T2_PKS4_S6_PKS3_PKT1_21rocsparse_index_base_S6_S6_S8_SB_PS9_SC_S6_S6_S8_SB_SD_SC_SB_SD_.numbered_sgpr, 53
	.set _ZN9rocsparseL17kernel_correctionILi1024ELi64E21rocsparse_complex_numIdEiiEEvT3_T2_PKS4_S6_PKS3_PKT1_21rocsparse_index_base_S6_S6_S8_SB_PS9_SC_S6_S6_S8_SB_SD_SC_SB_SD_.num_named_barrier, 0
	.set _ZN9rocsparseL17kernel_correctionILi1024ELi64E21rocsparse_complex_numIdEiiEEvT3_T2_PKS4_S6_PKS3_PKT1_21rocsparse_index_base_S6_S6_S8_SB_PS9_SC_S6_S6_S8_SB_SD_SC_SB_SD_.private_seg_size, 0
	.set _ZN9rocsparseL17kernel_correctionILi1024ELi64E21rocsparse_complex_numIdEiiEEvT3_T2_PKS4_S6_PKS3_PKT1_21rocsparse_index_base_S6_S6_S8_SB_PS9_SC_S6_S6_S8_SB_SD_SC_SB_SD_.uses_vcc, 1
	.set _ZN9rocsparseL17kernel_correctionILi1024ELi64E21rocsparse_complex_numIdEiiEEvT3_T2_PKS4_S6_PKS3_PKT1_21rocsparse_index_base_S6_S6_S8_SB_PS9_SC_S6_S6_S8_SB_SD_SC_SB_SD_.uses_flat_scratch, 0
	.set _ZN9rocsparseL17kernel_correctionILi1024ELi64E21rocsparse_complex_numIdEiiEEvT3_T2_PKS4_S6_PKS3_PKT1_21rocsparse_index_base_S6_S6_S8_SB_PS9_SC_S6_S6_S8_SB_SD_SC_SB_SD_.has_dyn_sized_stack, 0
	.set _ZN9rocsparseL17kernel_correctionILi1024ELi64E21rocsparse_complex_numIdEiiEEvT3_T2_PKS4_S6_PKS3_PKT1_21rocsparse_index_base_S6_S6_S8_SB_PS9_SC_S6_S6_S8_SB_SD_SC_SB_SD_.has_recursion, 0
	.set _ZN9rocsparseL17kernel_correctionILi1024ELi64E21rocsparse_complex_numIdEiiEEvT3_T2_PKS4_S6_PKS3_PKT1_21rocsparse_index_base_S6_S6_S8_SB_PS9_SC_S6_S6_S8_SB_SD_SC_SB_SD_.has_indirect_call, 0
	.section	.AMDGPU.csdata,"",@progbits
; Kernel info:
; codeLenInByte = 2620
; TotalNumSgprs: 55
; NumVgprs: 37
; ScratchSize: 0
; MemoryBound: 1
; FloatMode: 240
; IeeeMode: 1
; LDSByteSize: 0 bytes/workgroup (compile time only)
; SGPRBlocks: 0
; VGPRBlocks: 4
; NumSGPRsForWavesPerEU: 55
; NumVGPRsForWavesPerEU: 37
; Occupancy: 16
; WaveLimiterHint : 1
; COMPUTE_PGM_RSRC2:SCRATCH_EN: 0
; COMPUTE_PGM_RSRC2:USER_SGPR: 6
; COMPUTE_PGM_RSRC2:TRAP_HANDLER: 0
; COMPUTE_PGM_RSRC2:TGID_X_EN: 1
; COMPUTE_PGM_RSRC2:TGID_Y_EN: 0
; COMPUTE_PGM_RSRC2:TGID_Z_EN: 0
; COMPUTE_PGM_RSRC2:TIDIG_COMP_CNT: 0
	.section	.text._ZN9rocsparseL19kernel_nrm_residualILi1024ELi1E21rocsparse_complex_numIdEiiEEvT3_T2_PKS4_S6_PKS3_PKT1_21rocsparse_index_base_S6_S6_S8_SB_SC_S6_S6_S8_SB_SC_SB_PNS_15floating_traitsIS9_E6data_tEPKSF_,"axG",@progbits,_ZN9rocsparseL19kernel_nrm_residualILi1024ELi1E21rocsparse_complex_numIdEiiEEvT3_T2_PKS4_S6_PKS3_PKT1_21rocsparse_index_base_S6_S6_S8_SB_SC_S6_S6_S8_SB_SC_SB_PNS_15floating_traitsIS9_E6data_tEPKSF_,comdat
	.globl	_ZN9rocsparseL19kernel_nrm_residualILi1024ELi1E21rocsparse_complex_numIdEiiEEvT3_T2_PKS4_S6_PKS3_PKT1_21rocsparse_index_base_S6_S6_S8_SB_SC_S6_S6_S8_SB_SC_SB_PNS_15floating_traitsIS9_E6data_tEPKSF_ ; -- Begin function _ZN9rocsparseL19kernel_nrm_residualILi1024ELi1E21rocsparse_complex_numIdEiiEEvT3_T2_PKS4_S6_PKS3_PKT1_21rocsparse_index_base_S6_S6_S8_SB_SC_S6_S6_S8_SB_SC_SB_PNS_15floating_traitsIS9_E6data_tEPKSF_
	.p2align	8
	.type	_ZN9rocsparseL19kernel_nrm_residualILi1024ELi1E21rocsparse_complex_numIdEiiEEvT3_T2_PKS4_S6_PKS3_PKT1_21rocsparse_index_base_S6_S6_S8_SB_SC_S6_S6_S8_SB_SC_SB_PNS_15floating_traitsIS9_E6data_tEPKSF_,@function
_ZN9rocsparseL19kernel_nrm_residualILi1024ELi1E21rocsparse_complex_numIdEiiEEvT3_T2_PKS4_S6_PKS3_PKT1_21rocsparse_index_base_S6_S6_S8_SB_SC_S6_S6_S8_SB_SC_SB_PNS_15floating_traitsIS9_E6data_tEPKSF_: ; @_ZN9rocsparseL19kernel_nrm_residualILi1024ELi1E21rocsparse_complex_numIdEiiEEvT3_T2_PKS4_S6_PKS3_PKT1_21rocsparse_index_base_S6_S6_S8_SB_SC_S6_S6_S8_SB_SC_SB_PNS_15floating_traitsIS9_E6data_tEPKSF_
; %bb.0:
	s_load_dword s7, s[4:5], 0x0
	s_lshl_b32 s34, s6, 10
	v_mov_b32_e32 v3, 0
	v_or_b32_e32 v1, s34, v0
	v_mov_b32_e32 v4, 0
	s_mov_b32 s6, exec_lo
	s_waitcnt lgkmcnt(0)
	v_cmpx_gt_i32_e64 s7, v1
	s_cbranch_execz .LBB49_46
; %bb.1:
	v_mov_b32_e32 v3, 0
	v_mov_b32_e32 v4, 0
	s_addk_i32 s34, 0x400
	s_mov_b32 s33, exec_lo
	v_cmpx_gt_u32_e64 s34, v1
	s_cbranch_execz .LBB49_45
; %bb.2:
	s_clause 0x6
	s_load_dwordx8 s[8:15], s[4:5], 0x58
	s_load_dwordx8 s[16:23], s[4:5], 0x30
	;; [unrolled: 1-line block ×3, first 2 shown]
	s_load_dword s35, s[4:5], 0x28
	s_load_dword s36, s[4:5], 0x50
	s_load_dwordx2 s[2:3], s[4:5], 0x80
	s_load_dword s37, s[4:5], 0x78
	v_mov_b32_e32 v3, 0
	v_mov_b32_e32 v4, 0
	;; [unrolled: 1-line block ×3, first 2 shown]
	s_mov_b32 s38, 0
	s_branch .LBB49_6
.LBB49_3:                               ;   in Loop: Header=BB49_6 Depth=1
	s_or_b32 exec_lo, exec_lo, s41
.LBB49_4:                               ;   in Loop: Header=BB49_6 Depth=1
	s_or_b32 exec_lo, exec_lo, s40
.LBB49_5:                               ;   in Loop: Header=BB49_6 Depth=1
	s_or_b32 exec_lo, exec_lo, s39
	v_add_nc_u32_e32 v1, 0x400, v1
	v_cmp_le_u32_e32 vcc_lo, s34, v1
	s_or_b32 s38, vcc_lo, s38
	s_andn2_b32 exec_lo, exec_lo, s38
	s_cbranch_execz .LBB49_44
.LBB49_6:                               ; =>This Loop Header: Depth=1
                                        ;     Child Loop BB49_10 Depth 2
                                        ;       Child Loop BB49_14 Depth 3
                                        ;       Child Loop BB49_31 Depth 3
	;; [unrolled: 1-line block ×3, first 2 shown]
	s_mov_b32 s39, exec_lo
	v_cmpx_gt_i32_e64 s7, v1
	s_cbranch_execz .LBB49_5
; %bb.7:                                ;   in Loop: Header=BB49_6 Depth=1
	v_ashrrev_i32_e32 v2, 31, v1
	s_mov_b32 s40, exec_lo
	v_lshlrev_b64 v[7:8], 2, v[1:2]
	s_waitcnt lgkmcnt(0)
	v_add_co_u32 v9, vcc_lo, s24, v7
	v_add_co_ci_u32_e64 v10, null, s25, v8, vcc_lo
	v_add_co_u32 v11, vcc_lo, s26, v7
	v_add_co_ci_u32_e64 v12, null, s27, v8, vcc_lo
	global_load_dword v5, v[9:10], off
	global_load_dword v2, v[11:12], off
	s_waitcnt vmcnt(0)
	v_cmpx_lt_i32_e64 v5, v2
	s_cbranch_execz .LBB49_4
; %bb.8:                                ;   in Loop: Header=BB49_6 Depth=1
	v_add_co_u32 v9, vcc_lo, s16, v7
	v_add_co_ci_u32_e64 v10, null, s17, v8, vcc_lo
	v_add_co_u32 v7, vcc_lo, s18, v7
	v_add_co_ci_u32_e64 v8, null, s19, v8, vcc_lo
	global_load_dword v12, v[9:10], off
	v_subrev_nc_u32_e32 v2, s35, v2
	v_subrev_nc_u32_e32 v9, s35, v5
	global_load_dword v13, v[7:8], off
	s_mov_b32 s41, 0
	s_waitcnt vmcnt(1)
	v_subrev_nc_u32_e32 v7, s36, v12
	s_waitcnt vmcnt(0)
	v_sub_nc_u32_e32 v21, v13, v12
	v_ashrrev_i32_e32 v8, 31, v7
	v_cmp_lt_i32_e64 s0, 0, v21
	v_lshlrev_b64 v[10:11], 2, v[7:8]
	v_lshlrev_b64 v[12:13], 4, v[7:8]
	v_add_co_u32 v8, vcc_lo, s20, v10
	v_add_co_ci_u32_e64 v22, null, s21, v11, vcc_lo
	v_add_co_u32 v23, vcc_lo, s22, v12
	v_add_co_ci_u32_e64 v24, null, s23, v13, vcc_lo
	s_branch .LBB49_10
.LBB49_9:                               ;   in Loop: Header=BB49_10 Depth=2
	s_or_b32 exec_lo, exec_lo, s1
	v_cmp_nlg_f64_e64 s42, 0x7ff00000, |v[14:15]|
	v_cmp_gt_f64_e32 vcc_lo, v[3:4], v[14:15]
	v_add_nc_u32_e32 v9, 1, v9
	v_cmp_ge_i32_e64 s1, v9, v2
	s_or_b32 vcc_lo, s42, vcc_lo
	s_or_b32 s41, s1, s41
	v_cndmask_b32_e32 v4, v15, v4, vcc_lo
	v_cndmask_b32_e32 v3, v14, v3, vcc_lo
	s_andn2_b32 exec_lo, exec_lo, s41
	s_cbranch_execz .LBB49_3
.LBB49_10:                              ;   Parent Loop BB49_6 Depth=1
                                        ; =>  This Loop Header: Depth=2
                                        ;       Child Loop BB49_14 Depth 3
                                        ;       Child Loop BB49_31 Depth 3
	;; [unrolled: 1-line block ×3, first 2 shown]
	v_ashrrev_i32_e32 v10, 31, v9
	v_lshlrev_b64 v[11:12], 2, v[9:10]
	v_add_co_u32 v11, vcc_lo, s28, v11
	v_add_co_ci_u32_e64 v12, null, s29, v12, vcc_lo
	global_load_dword v5, v[11:12], off
	s_waitcnt vmcnt(0)
	v_subrev_nc_u32_e32 v11, s35, v5
	v_mov_b32_e32 v5, 0
	v_ashrrev_i32_e32 v12, 31, v11
	v_lshlrev_b64 v[13:14], 2, v[11:12]
	v_add_co_u32 v15, vcc_lo, s8, v13
	v_add_co_ci_u32_e64 v16, null, s9, v14, vcc_lo
	v_add_co_u32 v13, vcc_lo, s10, v13
	v_add_co_ci_u32_e64 v14, null, s11, v14, vcc_lo
	global_load_dword v18, v[15:16], off
	global_load_dword v19, v[13:14], off
	v_mov_b32_e32 v13, 0
	v_mov_b32_e32 v15, 0
	;; [unrolled: 1-line block ×4, first 2 shown]
	s_waitcnt vmcnt(1)
	v_subrev_nc_u32_e32 v17, s37, v18
	s_waitcnt vmcnt(0)
	v_sub_nc_u32_e32 v25, v19, v18
	v_mov_b32_e32 v18, v5
	s_and_saveexec_b32 s42, s0
	s_cbranch_execz .LBB49_18
; %bb.11:                               ;   in Loop: Header=BB49_10 Depth=2
	v_ashrrev_i32_e32 v18, 31, v17
	v_mov_b32_e32 v13, 0
	v_mov_b32_e32 v14, 0
	;; [unrolled: 1-line block ×3, first 2 shown]
	s_mov_b32 s43, 0
	v_lshlrev_b64 v[15:16], 2, v[17:18]
	v_lshlrev_b64 v[18:19], 4, v[17:18]
                                        ; implicit-def: $sgpr44
	v_add_co_u32 v20, vcc_lo, s12, v15
	v_add_co_ci_u32_e64 v26, null, s13, v16, vcc_lo
	v_add_co_u32 v27, vcc_lo, s14, v18
	v_mov_b32_e32 v15, 0
	v_add_co_ci_u32_e64 v28, null, s15, v19, vcc_lo
	v_mov_b32_e32 v18, 0
	v_mov_b32_e32 v16, 0
	s_branch .LBB49_14
.LBB49_12:                              ;   in Loop: Header=BB49_14 Depth=3
	s_or_b32 exec_lo, exec_lo, s1
	v_cmp_le_i32_e32 vcc_lo, v29, v30
	v_cmp_ge_i32_e64 s1, v29, v30
	v_add_co_ci_u32_e64 v5, null, 0, v5, vcc_lo
	v_add_co_ci_u32_e64 v18, null, 0, v18, s1
	s_andn2_b32 s1, s44, exec_lo
	v_cmp_ge_i32_e32 vcc_lo, v5, v21
	s_and_b32 s44, vcc_lo, exec_lo
	s_or_b32 s44, s1, s44
.LBB49_13:                              ;   in Loop: Header=BB49_14 Depth=3
	s_or_b32 exec_lo, exec_lo, s45
	s_and_b32 s1, exec_lo, s44
	s_or_b32 s43, s1, s43
	s_andn2_b32 exec_lo, exec_lo, s43
	s_cbranch_execz .LBB49_17
.LBB49_14:                              ;   Parent Loop BB49_6 Depth=1
                                        ;     Parent Loop BB49_10 Depth=2
                                        ; =>    This Inner Loop Header: Depth=3
	s_or_b32 s44, s44, exec_lo
	s_mov_b32 s45, exec_lo
	v_cmpx_lt_i32_e64 v18, v25
	s_cbranch_execz .LBB49_13
; %bb.15:                               ;   in Loop: Header=BB49_14 Depth=3
	v_mov_b32_e32 v19, v6
	v_lshlrev_b64 v[29:30], 2, v[5:6]
	s_mov_b32 s1, exec_lo
	v_lshlrev_b64 v[31:32], 2, v[18:19]
	v_add_co_u32 v29, vcc_lo, v8, v29
	v_add_co_ci_u32_e64 v30, null, v22, v30, vcc_lo
	v_add_co_u32 v31, vcc_lo, v20, v31
	v_add_co_ci_u32_e64 v32, null, v26, v32, vcc_lo
	global_load_dword v29, v[29:30], off
	global_load_dword v30, v[31:32], off
	s_waitcnt vmcnt(1)
	v_subrev_nc_u32_e32 v29, s36, v29
	s_waitcnt vmcnt(0)
	v_subrev_nc_u32_e32 v30, s37, v30
	v_cmpx_eq_u32_e64 v29, v30
	s_cbranch_execz .LBB49_12
; %bb.16:                               ;   in Loop: Header=BB49_14 Depth=3
	v_lshlrev_b64 v[31:32], 4, v[5:6]
	v_lshlrev_b64 v[33:34], 4, v[18:19]
	v_add_co_u32 v31, vcc_lo, v23, v31
	v_add_co_ci_u32_e64 v32, null, v24, v32, vcc_lo
	v_add_co_u32 v35, vcc_lo, v27, v33
	v_add_co_ci_u32_e64 v36, null, v28, v34, vcc_lo
	global_load_dwordx4 v[31:34], v[31:32], off
	global_load_dwordx4 v[35:38], v[35:36], off
	s_waitcnt vmcnt(0)
	v_fma_f64 v[13:14], v[31:32], v[35:36], v[13:14]
	v_fma_f64 v[15:16], v[33:34], v[35:36], v[15:16]
	v_fma_f64 v[13:14], -v[33:34], v[37:38], v[13:14]
	v_fma_f64 v[15:16], v[31:32], v[37:38], v[15:16]
	s_branch .LBB49_12
.LBB49_17:                              ;   in Loop: Header=BB49_10 Depth=2
	s_or_b32 exec_lo, exec_lo, s43
.LBB49_18:                              ;   in Loop: Header=BB49_10 Depth=2
	s_or_b32 exec_lo, exec_lo, s42
	s_mov_b32 s1, exec_lo
	v_cmpx_ge_i32_e64 v18, v25
	s_xor_b32 s1, exec_lo, s1
	s_cbranch_execnz .LBB49_28
; %bb.19:                               ;   in Loop: Header=BB49_10 Depth=2
	s_andn2_saveexec_b32 s1, s1
	s_cbranch_execnz .LBB49_37
.LBB49_20:                              ;   in Loop: Header=BB49_10 Depth=2
	s_or_b32 exec_lo, exec_lo, s1
	s_mov_b32 s1, exec_lo
	v_cmpx_eq_u32_e64 v1, v11
	s_cbranch_execz .LBB49_22
.LBB49_21:                              ;   in Loop: Header=BB49_10 Depth=2
	v_lshlrev_b64 v[11:12], 4, v[11:12]
	v_add_co_u32 v11, vcc_lo, s2, v11
	v_add_co_ci_u32_e64 v12, null, s3, v12, vcc_lo
	global_load_dwordx4 v[17:20], v[11:12], off
	s_waitcnt vmcnt(0)
	v_add_f64 v[13:14], v[13:14], v[17:18]
	v_add_f64 v[15:16], v[15:16], v[19:20]
.LBB49_22:                              ;   in Loop: Header=BB49_10 Depth=2
	s_or_b32 exec_lo, exec_lo, s1
	v_lshlrev_b64 v[10:11], 4, v[9:10]
	s_mov_b32 s1, exec_lo
	v_add_co_u32 v10, vcc_lo, s30, v10
	v_add_co_ci_u32_e64 v11, null, s31, v11, vcc_lo
	global_load_dwordx4 v[17:20], v[10:11], off
	s_waitcnt vmcnt(0)
	v_add_f64 v[10:11], v[17:18], -v[13:14]
	v_add_f64 v[16:17], v[19:20], -v[15:16]
                                        ; implicit-def: $vgpr14_vgpr15
	v_cmp_gt_f64_e32 vcc_lo, 0, v[10:11]
	v_xor_b32_e32 v5, 0x80000000, v11
	v_xor_b32_e32 v12, 0x80000000, v17
	v_cndmask_b32_e32 v11, v11, v5, vcc_lo
	v_cmp_gt_f64_e32 vcc_lo, 0, v[16:17]
	v_cndmask_b32_e32 v13, v17, v12, vcc_lo
	v_mov_b32_e32 v12, v16
	v_cmpx_ngt_f64_e32 v[10:11], v[12:13]
	s_xor_b32 s1, exec_lo, s1
	s_cbranch_execz .LBB49_26
; %bb.23:                               ;   in Loop: Header=BB49_10 Depth=2
	v_mov_b32_e32 v14, 0
	v_mov_b32_e32 v15, 0
	s_mov_b32 s42, exec_lo
	v_cmpx_neq_f64_e32 0, v[16:17]
	s_cbranch_execz .LBB49_25
; %bb.24:                               ;   in Loop: Header=BB49_10 Depth=2
	v_div_scale_f64 v[14:15], null, v[12:13], v[12:13], v[10:11]
	v_div_scale_f64 v[25:26], vcc_lo, v[10:11], v[12:13], v[10:11]
	v_rcp_f64_e32 v[16:17], v[14:15]
	v_fma_f64 v[18:19], -v[14:15], v[16:17], 1.0
	v_fma_f64 v[16:17], v[16:17], v[18:19], v[16:17]
	v_fma_f64 v[18:19], -v[14:15], v[16:17], 1.0
	v_fma_f64 v[16:17], v[16:17], v[18:19], v[16:17]
	v_mul_f64 v[18:19], v[25:26], v[16:17]
	v_fma_f64 v[14:15], -v[14:15], v[18:19], v[25:26]
	v_div_fmas_f64 v[14:15], v[14:15], v[16:17], v[18:19]
	v_div_fixup_f64 v[10:11], v[14:15], v[12:13], v[10:11]
	v_fma_f64 v[10:11], v[10:11], v[10:11], 1.0
	v_cmp_gt_f64_e32 vcc_lo, 0x10000000, v[10:11]
	v_cndmask_b32_e64 v5, 0, 0x100, vcc_lo
	v_ldexp_f64 v[10:11], v[10:11], v5
	v_cndmask_b32_e64 v5, 0, 0xffffff80, vcc_lo
	v_rsq_f64_e32 v[14:15], v[10:11]
	v_cmp_class_f64_e64 vcc_lo, v[10:11], 0x260
	v_mul_f64 v[16:17], v[10:11], v[14:15]
	v_mul_f64 v[14:15], v[14:15], 0.5
	v_fma_f64 v[18:19], -v[14:15], v[16:17], 0.5
	v_fma_f64 v[16:17], v[16:17], v[18:19], v[16:17]
	v_fma_f64 v[14:15], v[14:15], v[18:19], v[14:15]
	v_fma_f64 v[18:19], -v[16:17], v[16:17], v[10:11]
	v_fma_f64 v[16:17], v[18:19], v[14:15], v[16:17]
	v_fma_f64 v[18:19], -v[16:17], v[16:17], v[10:11]
	v_fma_f64 v[14:15], v[18:19], v[14:15], v[16:17]
	v_ldexp_f64 v[14:15], v[14:15], v5
	v_cndmask_b32_e32 v11, v15, v11, vcc_lo
	v_cndmask_b32_e32 v10, v14, v10, vcc_lo
	v_mul_f64 v[14:15], v[12:13], v[10:11]
.LBB49_25:                              ;   in Loop: Header=BB49_10 Depth=2
	s_or_b32 exec_lo, exec_lo, s42
                                        ; implicit-def: $vgpr10_vgpr11
                                        ; implicit-def: $vgpr12_vgpr13
.LBB49_26:                              ;   in Loop: Header=BB49_10 Depth=2
	s_andn2_saveexec_b32 s1, s1
	s_cbranch_execz .LBB49_9
; %bb.27:                               ;   in Loop: Header=BB49_10 Depth=2
	v_div_scale_f64 v[14:15], null, v[10:11], v[10:11], v[12:13]
	v_div_scale_f64 v[25:26], vcc_lo, v[12:13], v[10:11], v[12:13]
	v_rcp_f64_e32 v[16:17], v[14:15]
	v_fma_f64 v[18:19], -v[14:15], v[16:17], 1.0
	v_fma_f64 v[16:17], v[16:17], v[18:19], v[16:17]
	v_fma_f64 v[18:19], -v[14:15], v[16:17], 1.0
	v_fma_f64 v[16:17], v[16:17], v[18:19], v[16:17]
	v_mul_f64 v[18:19], v[25:26], v[16:17]
	v_fma_f64 v[14:15], -v[14:15], v[18:19], v[25:26]
	v_div_fmas_f64 v[14:15], v[14:15], v[16:17], v[18:19]
	v_div_fixup_f64 v[12:13], v[14:15], v[10:11], v[12:13]
	v_fma_f64 v[12:13], v[12:13], v[12:13], 1.0
	v_cmp_gt_f64_e32 vcc_lo, 0x10000000, v[12:13]
	v_cndmask_b32_e64 v5, 0, 0x100, vcc_lo
	v_ldexp_f64 v[12:13], v[12:13], v5
	v_cndmask_b32_e64 v5, 0, 0xffffff80, vcc_lo
	v_rsq_f64_e32 v[14:15], v[12:13]
	v_cmp_class_f64_e64 vcc_lo, v[12:13], 0x260
	v_mul_f64 v[16:17], v[12:13], v[14:15]
	v_mul_f64 v[14:15], v[14:15], 0.5
	v_fma_f64 v[18:19], -v[14:15], v[16:17], 0.5
	v_fma_f64 v[16:17], v[16:17], v[18:19], v[16:17]
	v_fma_f64 v[14:15], v[14:15], v[18:19], v[14:15]
	v_fma_f64 v[18:19], -v[16:17], v[16:17], v[12:13]
	v_fma_f64 v[16:17], v[18:19], v[14:15], v[16:17]
	v_fma_f64 v[18:19], -v[16:17], v[16:17], v[12:13]
	v_fma_f64 v[14:15], v[18:19], v[14:15], v[16:17]
	v_ldexp_f64 v[14:15], v[14:15], v5
	v_cndmask_b32_e32 v13, v15, v13, vcc_lo
	v_cndmask_b32_e32 v12, v14, v12, vcc_lo
	v_mul_f64 v[14:15], v[10:11], v[12:13]
	s_branch .LBB49_9
.LBB49_28:                              ;   in Loop: Header=BB49_10 Depth=2
	s_mov_b32 s42, exec_lo
	v_cmpx_lt_i32_e64 v5, v21
	s_cbranch_execz .LBB49_36
; %bb.29:                               ;   in Loop: Header=BB49_10 Depth=2
	s_mov_b32 s44, 0
                                        ; implicit-def: $sgpr43
                                        ; implicit-def: $sgpr46
                                        ; implicit-def: $sgpr45
	s_inst_prefetch 0x1
	s_branch .LBB49_31
	.p2align	6
.LBB49_30:                              ;   in Loop: Header=BB49_31 Depth=3
	s_or_b32 exec_lo, exec_lo, s47
	s_and_b32 s47, exec_lo, s46
	s_or_b32 s44, s47, s44
	s_andn2_b32 s43, s43, exec_lo
	s_and_b32 s47, s45, exec_lo
	s_or_b32 s43, s43, s47
	s_andn2_b32 exec_lo, exec_lo, s44
	s_cbranch_execz .LBB49_33
.LBB49_31:                              ;   Parent Loop BB49_6 Depth=1
                                        ;     Parent Loop BB49_10 Depth=2
                                        ; =>    This Inner Loop Header: Depth=3
	v_add_nc_u32_e32 v17, v7, v5
	s_or_b32 s45, s45, exec_lo
	s_or_b32 s46, s46, exec_lo
	s_mov_b32 s47, exec_lo
	v_ashrrev_i32_e32 v18, 31, v17
	v_lshlrev_b64 v[19:20], 2, v[17:18]
	v_add_co_u32 v19, vcc_lo, s20, v19
	v_add_co_ci_u32_e64 v20, null, s21, v20, vcc_lo
	global_load_dword v19, v[19:20], off
	s_waitcnt vmcnt(0)
	v_subrev_nc_u32_e32 v19, s36, v19
	v_cmpx_ne_u32_e64 v19, v11
	s_cbranch_execz .LBB49_30
; %bb.32:                               ;   in Loop: Header=BB49_31 Depth=3
	v_add_nc_u32_e32 v5, 1, v5
	s_andn2_b32 s46, s46, exec_lo
	s_andn2_b32 s45, s45, exec_lo
	v_cmp_ge_i32_e32 vcc_lo, v5, v21
	s_and_b32 s48, vcc_lo, exec_lo
	s_or_b32 s46, s46, s48
	s_branch .LBB49_30
.LBB49_33:                              ;   in Loop: Header=BB49_10 Depth=2
	s_inst_prefetch 0x2
	s_or_b32 exec_lo, exec_lo, s44
	s_and_saveexec_b32 s44, s43
	s_xor_b32 s43, exec_lo, s44
	s_cbranch_execz .LBB49_35
; %bb.34:                               ;   in Loop: Header=BB49_10 Depth=2
	v_lshlrev_b64 v[19:20], 4, v[11:12]
	v_lshlrev_b64 v[17:18], 4, v[17:18]
	v_add_co_u32 v19, vcc_lo, s2, v19
	v_add_co_ci_u32_e64 v20, null, s3, v20, vcc_lo
	v_add_co_u32 v25, vcc_lo, s22, v17
	v_add_co_ci_u32_e64 v26, null, s23, v18, vcc_lo
	global_load_dwordx4 v[17:20], v[19:20], off
	global_load_dwordx4 v[25:28], v[25:26], off
	s_waitcnt vmcnt(0)
	v_mul_f64 v[29:30], v[19:20], -v[27:28]
	v_mul_f64 v[19:20], v[19:20], v[25:26]
	v_fma_f64 v[25:26], v[25:26], v[17:18], v[29:30]
	v_fma_f64 v[17:18], v[27:28], v[17:18], v[19:20]
	v_add_f64 v[13:14], v[13:14], v[25:26]
	v_add_f64 v[15:16], v[15:16], v[17:18]
.LBB49_35:                              ;   in Loop: Header=BB49_10 Depth=2
	s_or_b32 exec_lo, exec_lo, s43
.LBB49_36:                              ;   in Loop: Header=BB49_10 Depth=2
	s_or_b32 exec_lo, exec_lo, s42
                                        ; implicit-def: $vgpr18
                                        ; implicit-def: $vgpr17
                                        ; implicit-def: $vgpr25
	s_andn2_saveexec_b32 s1, s1
	s_cbranch_execz .LBB49_20
.LBB49_37:                              ;   in Loop: Header=BB49_10 Depth=2
	s_mov_b32 s43, 0
                                        ; implicit-def: $sgpr42
                                        ; implicit-def: $sgpr45
                                        ; implicit-def: $sgpr44
	s_inst_prefetch 0x1
	s_branch .LBB49_39
	.p2align	6
.LBB49_38:                              ;   in Loop: Header=BB49_39 Depth=3
	s_or_b32 exec_lo, exec_lo, s46
	s_and_b32 s46, exec_lo, s45
	s_or_b32 s43, s46, s43
	s_andn2_b32 s42, s42, exec_lo
	s_and_b32 s46, s44, exec_lo
	s_or_b32 s42, s42, s46
	s_andn2_b32 exec_lo, exec_lo, s43
	s_cbranch_execz .LBB49_41
.LBB49_39:                              ;   Parent Loop BB49_6 Depth=1
                                        ;     Parent Loop BB49_10 Depth=2
                                        ; =>    This Inner Loop Header: Depth=3
	v_add_nc_u32_e32 v19, v17, v18
	s_or_b32 s44, s44, exec_lo
	s_or_b32 s45, s45, exec_lo
	s_mov_b32 s46, exec_lo
	v_ashrrev_i32_e32 v20, 31, v19
	v_lshlrev_b64 v[26:27], 2, v[19:20]
	v_add_co_u32 v26, vcc_lo, s12, v26
	v_add_co_ci_u32_e64 v27, null, s13, v27, vcc_lo
	global_load_dword v5, v[26:27], off
	s_waitcnt vmcnt(0)
	v_subrev_nc_u32_e32 v5, s37, v5
	v_cmpx_ne_u32_e64 v5, v1
	s_cbranch_execz .LBB49_38
; %bb.40:                               ;   in Loop: Header=BB49_39 Depth=3
	v_add_nc_u32_e32 v18, 1, v18
	s_andn2_b32 s45, s45, exec_lo
	s_andn2_b32 s44, s44, exec_lo
	v_cmp_ge_i32_e32 vcc_lo, v18, v25
	s_and_b32 s47, vcc_lo, exec_lo
	s_or_b32 s45, s45, s47
	s_branch .LBB49_38
.LBB49_41:                              ;   in Loop: Header=BB49_10 Depth=2
	s_inst_prefetch 0x2
	s_or_b32 exec_lo, exec_lo, s43
	s_and_saveexec_b32 s43, s42
	s_xor_b32 s42, exec_lo, s43
	s_cbranch_execz .LBB49_43
; %bb.42:                               ;   in Loop: Header=BB49_10 Depth=2
	v_lshlrev_b64 v[17:18], 4, v[19:20]
	v_add_co_u32 v17, vcc_lo, s14, v17
	v_add_co_ci_u32_e64 v18, null, s15, v18, vcc_lo
	global_load_dwordx4 v[17:20], v[17:18], off
	s_waitcnt vmcnt(0)
	v_add_f64 v[13:14], v[13:14], v[17:18]
	v_add_f64 v[15:16], v[15:16], v[19:20]
.LBB49_43:                              ;   in Loop: Header=BB49_10 Depth=2
	s_or_b32 exec_lo, exec_lo, s42
	s_or_b32 exec_lo, exec_lo, s1
	s_mov_b32 s1, exec_lo
	v_cmpx_eq_u32_e64 v1, v11
	s_cbranch_execnz .LBB49_21
	s_branch .LBB49_22
.LBB49_44:
	s_or_b32 exec_lo, exec_lo, s38
.LBB49_45:
	s_or_b32 exec_lo, exec_lo, s33
.LBB49_46:
	s_or_b32 exec_lo, exec_lo, s6
	v_lshlrev_b32_e32 v1, 3, v0
	s_mov_b32 s0, exec_lo
	ds_write_b64 v1, v[3:4]
	s_waitcnt lgkmcnt(0)
	s_barrier
	buffer_gl0_inv
	v_cmpx_gt_u32_e32 0x200, v0
	s_cbranch_execz .LBB49_48
; %bb.47:
	ds_read2st64_b64 v[2:5], v1 offset1:8
	s_waitcnt lgkmcnt(0)
	v_cmp_lt_f64_e32 vcc_lo, v[2:3], v[4:5]
	v_cndmask_b32_e32 v3, v3, v5, vcc_lo
	v_cndmask_b32_e32 v2, v2, v4, vcc_lo
	ds_write_b64 v1, v[2:3]
.LBB49_48:
	s_or_b32 exec_lo, exec_lo, s0
	s_mov_b32 s0, exec_lo
	s_waitcnt lgkmcnt(0)
	s_barrier
	buffer_gl0_inv
	v_cmpx_gt_u32_e32 0x100, v0
	s_cbranch_execz .LBB49_50
; %bb.49:
	ds_read2st64_b64 v[2:5], v1 offset1:4
	s_waitcnt lgkmcnt(0)
	v_cmp_lt_f64_e32 vcc_lo, v[2:3], v[4:5]
	v_cndmask_b32_e32 v3, v3, v5, vcc_lo
	v_cndmask_b32_e32 v2, v2, v4, vcc_lo
	ds_write_b64 v1, v[2:3]
.LBB49_50:
	s_or_b32 exec_lo, exec_lo, s0
	s_mov_b32 s0, exec_lo
	;; [unrolled: 15-line block ×4, first 2 shown]
	s_waitcnt lgkmcnt(0)
	s_barrier
	buffer_gl0_inv
	v_cmpx_gt_u32_e32 32, v0
	s_cbranch_execz .LBB49_56
; %bb.55:
	ds_read2_b64 v[2:5], v1 offset1:32
	s_waitcnt lgkmcnt(0)
	v_cmp_lt_f64_e32 vcc_lo, v[2:3], v[4:5]
	v_cndmask_b32_e32 v3, v3, v5, vcc_lo
	v_cndmask_b32_e32 v2, v2, v4, vcc_lo
	ds_write_b64 v1, v[2:3]
.LBB49_56:
	s_or_b32 exec_lo, exec_lo, s0
	s_mov_b32 s0, exec_lo
	s_waitcnt lgkmcnt(0)
	s_barrier
	buffer_gl0_inv
	v_cmpx_gt_u32_e32 16, v0
	s_cbranch_execz .LBB49_58
; %bb.57:
	ds_read2_b64 v[2:5], v1 offset1:16
	s_waitcnt lgkmcnt(0)
	v_cmp_lt_f64_e32 vcc_lo, v[2:3], v[4:5]
	v_cndmask_b32_e32 v3, v3, v5, vcc_lo
	v_cndmask_b32_e32 v2, v2, v4, vcc_lo
	ds_write_b64 v1, v[2:3]
.LBB49_58:
	s_or_b32 exec_lo, exec_lo, s0
	s_mov_b32 s0, exec_lo
	s_waitcnt lgkmcnt(0)
	s_barrier
	buffer_gl0_inv
	v_cmpx_gt_u32_e32 8, v0
	s_cbranch_execz .LBB49_60
; %bb.59:
	ds_read2_b64 v[2:5], v1 offset1:8
	s_waitcnt lgkmcnt(0)
	v_cmp_lt_f64_e32 vcc_lo, v[2:3], v[4:5]
	v_cndmask_b32_e32 v3, v3, v5, vcc_lo
	v_cndmask_b32_e32 v2, v2, v4, vcc_lo
	ds_write_b64 v1, v[2:3]
.LBB49_60:
	s_or_b32 exec_lo, exec_lo, s0
	s_mov_b32 s0, exec_lo
	s_waitcnt lgkmcnt(0)
	s_barrier
	buffer_gl0_inv
	v_cmpx_gt_u32_e32 4, v0
	s_cbranch_execz .LBB49_62
; %bb.61:
	ds_read2_b64 v[2:5], v1 offset1:4
	s_waitcnt lgkmcnt(0)
	v_cmp_lt_f64_e32 vcc_lo, v[2:3], v[4:5]
	v_cndmask_b32_e32 v3, v3, v5, vcc_lo
	v_cndmask_b32_e32 v2, v2, v4, vcc_lo
	ds_write_b64 v1, v[2:3]
.LBB49_62:
	s_or_b32 exec_lo, exec_lo, s0
	s_mov_b32 s0, exec_lo
	s_waitcnt lgkmcnt(0)
	s_barrier
	buffer_gl0_inv
	v_cmpx_gt_u32_e32 2, v0
	s_cbranch_execz .LBB49_64
; %bb.63:
	ds_read2_b64 v[2:5], v1 offset1:2
	s_waitcnt lgkmcnt(0)
	v_cmp_lt_f64_e32 vcc_lo, v[2:3], v[4:5]
	v_cndmask_b32_e32 v3, v3, v5, vcc_lo
	v_cndmask_b32_e32 v2, v2, v4, vcc_lo
	ds_write_b64 v1, v[2:3]
.LBB49_64:
	s_or_b32 exec_lo, exec_lo, s0
	v_cmp_eq_u32_e32 vcc_lo, 0, v0
	s_waitcnt lgkmcnt(0)
	s_barrier
	buffer_gl0_inv
	s_and_saveexec_b32 s1, vcc_lo
	s_cbranch_execz .LBB49_66
; %bb.65:
	v_mov_b32_e32 v4, 0
	ds_read_b128 v[0:3], v4
	s_waitcnt lgkmcnt(0)
	v_cmp_lt_f64_e64 s0, v[0:1], v[2:3]
	v_cndmask_b32_e64 v1, v1, v3, s0
	v_cndmask_b32_e64 v0, v0, v2, s0
	ds_write_b64 v4, v[0:1]
.LBB49_66:
	s_or_b32 exec_lo, exec_lo, s1
	s_waitcnt lgkmcnt(0)
	s_barrier
	buffer_gl0_inv
	s_and_saveexec_b32 s0, vcc_lo
	s_cbranch_execz .LBB49_70
; %bb.67:
	v_mbcnt_lo_u32_b32 v0, exec_lo, 0
	s_mov_b32 s6, 0
	v_cmp_eq_u32_e32 vcc_lo, 0, v0
	s_and_b32 exec_lo, exec_lo, vcc_lo
	s_cbranch_execz .LBB49_70
; %bb.68:
	s_load_dwordx4 s[0:3], s[4:5], 0x88
	v_mov_b32_e32 v6, 0
	ds_read_b64 v[0:1], v6
	s_waitcnt lgkmcnt(0)
	s_load_dwordx2 s[2:3], s[2:3], 0x0
	s_waitcnt lgkmcnt(0)
	v_div_scale_f64 v[2:3], null, s[2:3], s[2:3], v[0:1]
	v_rcp_f64_e32 v[4:5], v[2:3]
	v_fma_f64 v[7:8], -v[2:3], v[4:5], 1.0
	v_fma_f64 v[4:5], v[4:5], v[7:8], v[4:5]
	v_fma_f64 v[7:8], -v[2:3], v[4:5], 1.0
	v_fma_f64 v[4:5], v[4:5], v[7:8], v[4:5]
	v_div_scale_f64 v[7:8], vcc_lo, v[0:1], s[2:3], v[0:1]
	v_mul_f64 v[9:10], v[7:8], v[4:5]
	v_fma_f64 v[2:3], -v[2:3], v[9:10], v[7:8]
	v_div_fmas_f64 v[2:3], v[2:3], v[4:5], v[9:10]
	v_div_fixup_f64 v[0:1], v[2:3], s[2:3], v[0:1]
	s_load_dwordx2 s[2:3], s[0:1], 0x0
	s_waitcnt lgkmcnt(0)
	v_mov_b32_e32 v2, s2
	v_max_f64 v[4:5], v[0:1], v[0:1]
	v_mov_b32_e32 v3, s3
.LBB49_69:                              ; =>This Inner Loop Header: Depth=1
	v_max_f64 v[0:1], v[2:3], v[2:3]
	v_max_f64 v[0:1], v[0:1], v[4:5]
	global_atomic_cmpswap_x2 v[0:1], v6, v[0:3], s[0:1] glc
	s_waitcnt vmcnt(0)
	v_cmp_eq_u64_e32 vcc_lo, v[0:1], v[2:3]
	v_mov_b32_e32 v3, v1
	v_mov_b32_e32 v2, v0
	s_or_b32 s6, vcc_lo, s6
	s_andn2_b32 exec_lo, exec_lo, s6
	s_cbranch_execnz .LBB49_69
.LBB49_70:
	s_endpgm
	.section	.rodata,"a",@progbits
	.p2align	6, 0x0
	.amdhsa_kernel _ZN9rocsparseL19kernel_nrm_residualILi1024ELi1E21rocsparse_complex_numIdEiiEEvT3_T2_PKS4_S6_PKS3_PKT1_21rocsparse_index_base_S6_S6_S8_SB_SC_S6_S6_S8_SB_SC_SB_PNS_15floating_traitsIS9_E6data_tEPKSF_
		.amdhsa_group_segment_fixed_size 8192
		.amdhsa_private_segment_fixed_size 0
		.amdhsa_kernarg_size 152
		.amdhsa_user_sgpr_count 6
		.amdhsa_user_sgpr_private_segment_buffer 1
		.amdhsa_user_sgpr_dispatch_ptr 0
		.amdhsa_user_sgpr_queue_ptr 0
		.amdhsa_user_sgpr_kernarg_segment_ptr 1
		.amdhsa_user_sgpr_dispatch_id 0
		.amdhsa_user_sgpr_flat_scratch_init 0
		.amdhsa_user_sgpr_private_segment_size 0
		.amdhsa_wavefront_size32 1
		.amdhsa_uses_dynamic_stack 0
		.amdhsa_system_sgpr_private_segment_wavefront_offset 0
		.amdhsa_system_sgpr_workgroup_id_x 1
		.amdhsa_system_sgpr_workgroup_id_y 0
		.amdhsa_system_sgpr_workgroup_id_z 0
		.amdhsa_system_sgpr_workgroup_info 0
		.amdhsa_system_vgpr_workitem_id 0
		.amdhsa_next_free_vgpr 39
		.amdhsa_next_free_sgpr 49
		.amdhsa_reserve_vcc 1
		.amdhsa_reserve_flat_scratch 0
		.amdhsa_float_round_mode_32 0
		.amdhsa_float_round_mode_16_64 0
		.amdhsa_float_denorm_mode_32 3
		.amdhsa_float_denorm_mode_16_64 3
		.amdhsa_dx10_clamp 1
		.amdhsa_ieee_mode 1
		.amdhsa_fp16_overflow 0
		.amdhsa_workgroup_processor_mode 1
		.amdhsa_memory_ordered 1
		.amdhsa_forward_progress 1
		.amdhsa_shared_vgpr_count 0
		.amdhsa_exception_fp_ieee_invalid_op 0
		.amdhsa_exception_fp_denorm_src 0
		.amdhsa_exception_fp_ieee_div_zero 0
		.amdhsa_exception_fp_ieee_overflow 0
		.amdhsa_exception_fp_ieee_underflow 0
		.amdhsa_exception_fp_ieee_inexact 0
		.amdhsa_exception_int_div_zero 0
	.end_amdhsa_kernel
	.section	.text._ZN9rocsparseL19kernel_nrm_residualILi1024ELi1E21rocsparse_complex_numIdEiiEEvT3_T2_PKS4_S6_PKS3_PKT1_21rocsparse_index_base_S6_S6_S8_SB_SC_S6_S6_S8_SB_SC_SB_PNS_15floating_traitsIS9_E6data_tEPKSF_,"axG",@progbits,_ZN9rocsparseL19kernel_nrm_residualILi1024ELi1E21rocsparse_complex_numIdEiiEEvT3_T2_PKS4_S6_PKS3_PKT1_21rocsparse_index_base_S6_S6_S8_SB_SC_S6_S6_S8_SB_SC_SB_PNS_15floating_traitsIS9_E6data_tEPKSF_,comdat
.Lfunc_end49:
	.size	_ZN9rocsparseL19kernel_nrm_residualILi1024ELi1E21rocsparse_complex_numIdEiiEEvT3_T2_PKS4_S6_PKS3_PKT1_21rocsparse_index_base_S6_S6_S8_SB_SC_S6_S6_S8_SB_SC_SB_PNS_15floating_traitsIS9_E6data_tEPKSF_, .Lfunc_end49-_ZN9rocsparseL19kernel_nrm_residualILi1024ELi1E21rocsparse_complex_numIdEiiEEvT3_T2_PKS4_S6_PKS3_PKT1_21rocsparse_index_base_S6_S6_S8_SB_SC_S6_S6_S8_SB_SC_SB_PNS_15floating_traitsIS9_E6data_tEPKSF_
                                        ; -- End function
	.set _ZN9rocsparseL19kernel_nrm_residualILi1024ELi1E21rocsparse_complex_numIdEiiEEvT3_T2_PKS4_S6_PKS3_PKT1_21rocsparse_index_base_S6_S6_S8_SB_SC_S6_S6_S8_SB_SC_SB_PNS_15floating_traitsIS9_E6data_tEPKSF_.num_vgpr, 39
	.set _ZN9rocsparseL19kernel_nrm_residualILi1024ELi1E21rocsparse_complex_numIdEiiEEvT3_T2_PKS4_S6_PKS3_PKT1_21rocsparse_index_base_S6_S6_S8_SB_SC_S6_S6_S8_SB_SC_SB_PNS_15floating_traitsIS9_E6data_tEPKSF_.num_agpr, 0
	.set _ZN9rocsparseL19kernel_nrm_residualILi1024ELi1E21rocsparse_complex_numIdEiiEEvT3_T2_PKS4_S6_PKS3_PKT1_21rocsparse_index_base_S6_S6_S8_SB_SC_S6_S6_S8_SB_SC_SB_PNS_15floating_traitsIS9_E6data_tEPKSF_.numbered_sgpr, 49
	.set _ZN9rocsparseL19kernel_nrm_residualILi1024ELi1E21rocsparse_complex_numIdEiiEEvT3_T2_PKS4_S6_PKS3_PKT1_21rocsparse_index_base_S6_S6_S8_SB_SC_S6_S6_S8_SB_SC_SB_PNS_15floating_traitsIS9_E6data_tEPKSF_.num_named_barrier, 0
	.set _ZN9rocsparseL19kernel_nrm_residualILi1024ELi1E21rocsparse_complex_numIdEiiEEvT3_T2_PKS4_S6_PKS3_PKT1_21rocsparse_index_base_S6_S6_S8_SB_SC_S6_S6_S8_SB_SC_SB_PNS_15floating_traitsIS9_E6data_tEPKSF_.private_seg_size, 0
	.set _ZN9rocsparseL19kernel_nrm_residualILi1024ELi1E21rocsparse_complex_numIdEiiEEvT3_T2_PKS4_S6_PKS3_PKT1_21rocsparse_index_base_S6_S6_S8_SB_SC_S6_S6_S8_SB_SC_SB_PNS_15floating_traitsIS9_E6data_tEPKSF_.uses_vcc, 1
	.set _ZN9rocsparseL19kernel_nrm_residualILi1024ELi1E21rocsparse_complex_numIdEiiEEvT3_T2_PKS4_S6_PKS3_PKT1_21rocsparse_index_base_S6_S6_S8_SB_SC_S6_S6_S8_SB_SC_SB_PNS_15floating_traitsIS9_E6data_tEPKSF_.uses_flat_scratch, 0
	.set _ZN9rocsparseL19kernel_nrm_residualILi1024ELi1E21rocsparse_complex_numIdEiiEEvT3_T2_PKS4_S6_PKS3_PKT1_21rocsparse_index_base_S6_S6_S8_SB_SC_S6_S6_S8_SB_SC_SB_PNS_15floating_traitsIS9_E6data_tEPKSF_.has_dyn_sized_stack, 0
	.set _ZN9rocsparseL19kernel_nrm_residualILi1024ELi1E21rocsparse_complex_numIdEiiEEvT3_T2_PKS4_S6_PKS3_PKT1_21rocsparse_index_base_S6_S6_S8_SB_SC_S6_S6_S8_SB_SC_SB_PNS_15floating_traitsIS9_E6data_tEPKSF_.has_recursion, 0
	.set _ZN9rocsparseL19kernel_nrm_residualILi1024ELi1E21rocsparse_complex_numIdEiiEEvT3_T2_PKS4_S6_PKS3_PKT1_21rocsparse_index_base_S6_S6_S8_SB_SC_S6_S6_S8_SB_SC_SB_PNS_15floating_traitsIS9_E6data_tEPKSF_.has_indirect_call, 0
	.section	.AMDGPU.csdata,"",@progbits
; Kernel info:
; codeLenInByte = 3288
; TotalNumSgprs: 51
; NumVgprs: 39
; ScratchSize: 0
; MemoryBound: 1
; FloatMode: 240
; IeeeMode: 1
; LDSByteSize: 8192 bytes/workgroup (compile time only)
; SGPRBlocks: 0
; VGPRBlocks: 4
; NumSGPRsForWavesPerEU: 51
; NumVGPRsForWavesPerEU: 39
; Occupancy: 16
; WaveLimiterHint : 1
; COMPUTE_PGM_RSRC2:SCRATCH_EN: 0
; COMPUTE_PGM_RSRC2:USER_SGPR: 6
; COMPUTE_PGM_RSRC2:TRAP_HANDLER: 0
; COMPUTE_PGM_RSRC2:TGID_X_EN: 1
; COMPUTE_PGM_RSRC2:TGID_Y_EN: 0
; COMPUTE_PGM_RSRC2:TGID_Z_EN: 0
; COMPUTE_PGM_RSRC2:TIDIG_COMP_CNT: 0
	.section	.text._ZN9rocsparseL19kernel_nrm_residualILi1024ELi2E21rocsparse_complex_numIdEiiEEvT3_T2_PKS4_S6_PKS3_PKT1_21rocsparse_index_base_S6_S6_S8_SB_SC_S6_S6_S8_SB_SC_SB_PNS_15floating_traitsIS9_E6data_tEPKSF_,"axG",@progbits,_ZN9rocsparseL19kernel_nrm_residualILi1024ELi2E21rocsparse_complex_numIdEiiEEvT3_T2_PKS4_S6_PKS3_PKT1_21rocsparse_index_base_S6_S6_S8_SB_SC_S6_S6_S8_SB_SC_SB_PNS_15floating_traitsIS9_E6data_tEPKSF_,comdat
	.globl	_ZN9rocsparseL19kernel_nrm_residualILi1024ELi2E21rocsparse_complex_numIdEiiEEvT3_T2_PKS4_S6_PKS3_PKT1_21rocsparse_index_base_S6_S6_S8_SB_SC_S6_S6_S8_SB_SC_SB_PNS_15floating_traitsIS9_E6data_tEPKSF_ ; -- Begin function _ZN9rocsparseL19kernel_nrm_residualILi1024ELi2E21rocsparse_complex_numIdEiiEEvT3_T2_PKS4_S6_PKS3_PKT1_21rocsparse_index_base_S6_S6_S8_SB_SC_S6_S6_S8_SB_SC_SB_PNS_15floating_traitsIS9_E6data_tEPKSF_
	.p2align	8
	.type	_ZN9rocsparseL19kernel_nrm_residualILi1024ELi2E21rocsparse_complex_numIdEiiEEvT3_T2_PKS4_S6_PKS3_PKT1_21rocsparse_index_base_S6_S6_S8_SB_SC_S6_S6_S8_SB_SC_SB_PNS_15floating_traitsIS9_E6data_tEPKSF_,@function
_ZN9rocsparseL19kernel_nrm_residualILi1024ELi2E21rocsparse_complex_numIdEiiEEvT3_T2_PKS4_S6_PKS3_PKT1_21rocsparse_index_base_S6_S6_S8_SB_SC_S6_S6_S8_SB_SC_SB_PNS_15floating_traitsIS9_E6data_tEPKSF_: ; @_ZN9rocsparseL19kernel_nrm_residualILi1024ELi2E21rocsparse_complex_numIdEiiEEvT3_T2_PKS4_S6_PKS3_PKT1_21rocsparse_index_base_S6_S6_S8_SB_SC_S6_S6_S8_SB_SC_SB_PNS_15floating_traitsIS9_E6data_tEPKSF_
; %bb.0:
	s_load_dword s7, s[4:5], 0x0
	v_lshrrev_b32_e32 v20, 1, v0
	s_lshl_b32 s34, s6, 10
	v_mov_b32_e32 v3, 0
	v_and_b32_e32 v21, 1, v0
	v_mov_b32_e32 v4, 0
	v_or_b32_e32 v1, s34, v20
	s_mov_b32 s6, exec_lo
	s_waitcnt lgkmcnt(0)
	v_cmpx_gt_i32_e64 s7, v1
	s_cbranch_execz .LBB50_46
; %bb.1:
	v_mov_b32_e32 v3, 0
	v_mov_b32_e32 v4, 0
	s_addk_i32 s34, 0x400
	s_mov_b32 s33, exec_lo
	v_cmpx_gt_u32_e64 s34, v1
	s_cbranch_execz .LBB50_45
; %bb.2:
	s_clause 0x6
	s_load_dword s35, s[4:5], 0x28
	s_load_dwordx8 s[8:15], s[4:5], 0x58
	s_load_dwordx8 s[16:23], s[4:5], 0x30
	s_load_dwordx8 s[24:31], s[4:5], 0x8
	s_load_dword s36, s[4:5], 0x50
	s_load_dwordx2 s[2:3], s[4:5], 0x80
	s_load_dword s37, s[4:5], 0x78
	v_mov_b32_e32 v3, 0
	v_mov_b32_e32 v4, 0
	;; [unrolled: 1-line block ×3, first 2 shown]
	s_mov_b32 s38, 0
	s_waitcnt lgkmcnt(0)
	v_subrev_nc_u32_e32 v22, s35, v21
	s_branch .LBB50_6
.LBB50_3:                               ;   in Loop: Header=BB50_6 Depth=1
	s_or_b32 exec_lo, exec_lo, s41
.LBB50_4:                               ;   in Loop: Header=BB50_6 Depth=1
	s_or_b32 exec_lo, exec_lo, s40
.LBB50_5:                               ;   in Loop: Header=BB50_6 Depth=1
	s_or_b32 exec_lo, exec_lo, s39
	v_add_nc_u32_e32 v1, 0x200, v1
	v_cmp_le_u32_e32 vcc_lo, s34, v1
	s_or_b32 s38, vcc_lo, s38
	s_andn2_b32 exec_lo, exec_lo, s38
	s_cbranch_execz .LBB50_44
.LBB50_6:                               ; =>This Loop Header: Depth=1
                                        ;     Child Loop BB50_10 Depth 2
                                        ;       Child Loop BB50_14 Depth 3
                                        ;       Child Loop BB50_31 Depth 3
	;; [unrolled: 1-line block ×3, first 2 shown]
	s_mov_b32 s39, exec_lo
	v_cmpx_gt_i32_e64 s7, v1
	s_cbranch_execz .LBB50_5
; %bb.7:                                ;   in Loop: Header=BB50_6 Depth=1
	v_ashrrev_i32_e32 v2, 31, v1
	s_mov_b32 s40, exec_lo
	v_lshlrev_b64 v[8:9], 2, v[1:2]
	v_add_co_u32 v10, vcc_lo, s24, v8
	v_add_co_ci_u32_e64 v11, null, s25, v9, vcc_lo
	v_add_co_u32 v12, vcc_lo, s26, v8
	v_add_co_ci_u32_e64 v13, null, s27, v9, vcc_lo
	global_load_dword v2, v[10:11], off
	global_load_dword v5, v[12:13], off
	s_waitcnt vmcnt(1)
	v_add_nc_u32_e32 v7, v22, v2
	s_waitcnt vmcnt(0)
	v_subrev_nc_u32_e32 v2, s35, v5
	v_cmpx_lt_i32_e64 v7, v2
	s_cbranch_execz .LBB50_4
; %bb.8:                                ;   in Loop: Header=BB50_6 Depth=1
	v_add_co_u32 v10, vcc_lo, s16, v8
	v_add_co_ci_u32_e64 v11, null, s17, v9, vcc_lo
	v_add_co_u32 v8, vcc_lo, s18, v8
	v_add_co_ci_u32_e64 v9, null, s19, v9, vcc_lo
	global_load_dword v5, v[10:11], off
	s_mov_b32 s41, 0
	global_load_dword v8, v[8:9], off
	s_waitcnt vmcnt(1)
	v_subrev_nc_u32_e32 v9, s36, v5
	s_waitcnt vmcnt(0)
	v_sub_nc_u32_e32 v23, v8, v5
	v_ashrrev_i32_e32 v10, 31, v9
	v_cmp_lt_i32_e64 s0, 0, v23
	v_lshlrev_b64 v[11:12], 2, v[9:10]
	v_lshlrev_b64 v[13:14], 4, v[9:10]
	v_add_co_u32 v24, vcc_lo, s20, v11
	v_add_co_ci_u32_e64 v25, null, s21, v12, vcc_lo
	v_add_co_u32 v26, vcc_lo, s22, v13
	v_add_co_ci_u32_e64 v27, null, s23, v14, vcc_lo
	s_branch .LBB50_10
.LBB50_9:                               ;   in Loop: Header=BB50_10 Depth=2
	s_or_b32 exec_lo, exec_lo, s1
	v_cmp_nlg_f64_e64 s42, 0x7ff00000, |v[14:15]|
	v_cmp_gt_f64_e32 vcc_lo, v[3:4], v[14:15]
	v_add_nc_u32_e32 v7, 2, v7
	v_cmp_ge_i32_e64 s1, v7, v2
	s_or_b32 vcc_lo, s42, vcc_lo
	s_or_b32 s41, s1, s41
	v_cndmask_b32_e32 v4, v15, v4, vcc_lo
	v_cndmask_b32_e32 v3, v14, v3, vcc_lo
	s_andn2_b32 exec_lo, exec_lo, s41
	s_cbranch_execz .LBB50_3
.LBB50_10:                              ;   Parent Loop BB50_6 Depth=1
                                        ; =>  This Loop Header: Depth=2
                                        ;       Child Loop BB50_14 Depth 3
                                        ;       Child Loop BB50_31 Depth 3
	;; [unrolled: 1-line block ×3, first 2 shown]
	v_ashrrev_i32_e32 v8, 31, v7
	v_lshlrev_b64 v[10:11], 2, v[7:8]
	v_add_co_u32 v10, vcc_lo, s28, v10
	v_add_co_ci_u32_e64 v11, null, s29, v11, vcc_lo
	global_load_dword v5, v[10:11], off
	s_waitcnt vmcnt(0)
	v_subrev_nc_u32_e32 v10, s35, v5
	v_mov_b32_e32 v5, 0
	v_ashrrev_i32_e32 v11, 31, v10
	v_lshlrev_b64 v[12:13], 2, v[10:11]
	v_add_co_u32 v14, vcc_lo, s8, v12
	v_add_co_ci_u32_e64 v15, null, s9, v13, vcc_lo
	v_add_co_u32 v12, vcc_lo, s10, v12
	v_add_co_ci_u32_e64 v13, null, s11, v13, vcc_lo
	global_load_dword v17, v[14:15], off
	global_load_dword v18, v[12:13], off
	v_mov_b32_e32 v12, 0
	v_mov_b32_e32 v14, 0
	;; [unrolled: 1-line block ×4, first 2 shown]
	s_waitcnt vmcnt(1)
	v_subrev_nc_u32_e32 v16, s37, v17
	s_waitcnt vmcnt(0)
	v_sub_nc_u32_e32 v28, v18, v17
	v_mov_b32_e32 v17, v5
	s_and_saveexec_b32 s42, s0
	s_cbranch_execz .LBB50_18
; %bb.11:                               ;   in Loop: Header=BB50_10 Depth=2
	v_ashrrev_i32_e32 v17, 31, v16
	v_mov_b32_e32 v12, 0
	v_mov_b32_e32 v13, 0
	;; [unrolled: 1-line block ×3, first 2 shown]
	s_mov_b32 s43, 0
	v_lshlrev_b64 v[14:15], 2, v[16:17]
	v_lshlrev_b64 v[17:18], 4, v[16:17]
                                        ; implicit-def: $sgpr44
	v_add_co_u32 v19, vcc_lo, s12, v14
	v_add_co_ci_u32_e64 v29, null, s13, v15, vcc_lo
	v_add_co_u32 v30, vcc_lo, s14, v17
	v_mov_b32_e32 v14, 0
	v_add_co_ci_u32_e64 v31, null, s15, v18, vcc_lo
	v_mov_b32_e32 v17, 0
	v_mov_b32_e32 v15, 0
	s_branch .LBB50_14
.LBB50_12:                              ;   in Loop: Header=BB50_14 Depth=3
	s_or_b32 exec_lo, exec_lo, s1
	v_cmp_le_i32_e32 vcc_lo, v32, v33
	v_cmp_ge_i32_e64 s1, v32, v33
	v_add_co_ci_u32_e64 v5, null, 0, v5, vcc_lo
	v_add_co_ci_u32_e64 v17, null, 0, v17, s1
	s_andn2_b32 s1, s44, exec_lo
	v_cmp_ge_i32_e32 vcc_lo, v5, v23
	s_and_b32 s44, vcc_lo, exec_lo
	s_or_b32 s44, s1, s44
.LBB50_13:                              ;   in Loop: Header=BB50_14 Depth=3
	s_or_b32 exec_lo, exec_lo, s45
	s_and_b32 s1, exec_lo, s44
	s_or_b32 s43, s1, s43
	s_andn2_b32 exec_lo, exec_lo, s43
	s_cbranch_execz .LBB50_17
.LBB50_14:                              ;   Parent Loop BB50_6 Depth=1
                                        ;     Parent Loop BB50_10 Depth=2
                                        ; =>    This Inner Loop Header: Depth=3
	s_or_b32 s44, s44, exec_lo
	s_mov_b32 s45, exec_lo
	v_cmpx_lt_i32_e64 v17, v28
	s_cbranch_execz .LBB50_13
; %bb.15:                               ;   in Loop: Header=BB50_14 Depth=3
	v_mov_b32_e32 v18, v6
	v_lshlrev_b64 v[32:33], 2, v[5:6]
	s_mov_b32 s1, exec_lo
	v_lshlrev_b64 v[34:35], 2, v[17:18]
	v_add_co_u32 v32, vcc_lo, v24, v32
	v_add_co_ci_u32_e64 v33, null, v25, v33, vcc_lo
	v_add_co_u32 v34, vcc_lo, v19, v34
	v_add_co_ci_u32_e64 v35, null, v29, v35, vcc_lo
	global_load_dword v32, v[32:33], off
	global_load_dword v33, v[34:35], off
	s_waitcnt vmcnt(1)
	v_subrev_nc_u32_e32 v32, s36, v32
	s_waitcnt vmcnt(0)
	v_subrev_nc_u32_e32 v33, s37, v33
	v_cmpx_eq_u32_e64 v32, v33
	s_cbranch_execz .LBB50_12
; %bb.16:                               ;   in Loop: Header=BB50_14 Depth=3
	v_lshlrev_b64 v[34:35], 4, v[5:6]
	v_lshlrev_b64 v[36:37], 4, v[17:18]
	v_add_co_u32 v34, vcc_lo, v26, v34
	v_add_co_ci_u32_e64 v35, null, v27, v35, vcc_lo
	v_add_co_u32 v38, vcc_lo, v30, v36
	v_add_co_ci_u32_e64 v39, null, v31, v37, vcc_lo
	global_load_dwordx4 v[34:37], v[34:35], off
	global_load_dwordx4 v[38:41], v[38:39], off
	s_waitcnt vmcnt(0)
	v_fma_f64 v[12:13], v[34:35], v[38:39], v[12:13]
	v_fma_f64 v[14:15], v[36:37], v[38:39], v[14:15]
	v_fma_f64 v[12:13], -v[36:37], v[40:41], v[12:13]
	v_fma_f64 v[14:15], v[34:35], v[40:41], v[14:15]
	s_branch .LBB50_12
.LBB50_17:                              ;   in Loop: Header=BB50_10 Depth=2
	s_or_b32 exec_lo, exec_lo, s43
.LBB50_18:                              ;   in Loop: Header=BB50_10 Depth=2
	s_or_b32 exec_lo, exec_lo, s42
	s_mov_b32 s1, exec_lo
	v_cmpx_ge_i32_e64 v17, v28
	s_xor_b32 s1, exec_lo, s1
	s_cbranch_execnz .LBB50_28
; %bb.19:                               ;   in Loop: Header=BB50_10 Depth=2
	s_andn2_saveexec_b32 s1, s1
	s_cbranch_execnz .LBB50_37
.LBB50_20:                              ;   in Loop: Header=BB50_10 Depth=2
	s_or_b32 exec_lo, exec_lo, s1
	s_mov_b32 s1, exec_lo
	v_cmpx_eq_u32_e64 v1, v10
	s_cbranch_execz .LBB50_22
.LBB50_21:                              ;   in Loop: Header=BB50_10 Depth=2
	v_lshlrev_b64 v[10:11], 4, v[10:11]
	v_add_co_u32 v10, vcc_lo, s2, v10
	v_add_co_ci_u32_e64 v11, null, s3, v11, vcc_lo
	global_load_dwordx4 v[16:19], v[10:11], off
	s_waitcnt vmcnt(0)
	v_add_f64 v[12:13], v[12:13], v[16:17]
	v_add_f64 v[14:15], v[14:15], v[18:19]
.LBB50_22:                              ;   in Loop: Header=BB50_10 Depth=2
	s_or_b32 exec_lo, exec_lo, s1
	v_lshlrev_b64 v[10:11], 4, v[7:8]
	s_mov_b32 s1, exec_lo
	v_add_co_u32 v10, vcc_lo, s30, v10
	v_add_co_ci_u32_e64 v11, null, s31, v11, vcc_lo
	global_load_dwordx4 v[16:19], v[10:11], off
	s_waitcnt vmcnt(0)
	v_add_f64 v[10:11], v[16:17], -v[12:13]
	v_add_f64 v[16:17], v[18:19], -v[14:15]
                                        ; implicit-def: $vgpr14_vgpr15
	v_cmp_gt_f64_e32 vcc_lo, 0, v[10:11]
	v_xor_b32_e32 v5, 0x80000000, v11
	v_xor_b32_e32 v8, 0x80000000, v17
	v_mov_b32_e32 v12, v16
	v_cndmask_b32_e32 v11, v11, v5, vcc_lo
	v_cmp_gt_f64_e32 vcc_lo, 0, v[16:17]
	v_cndmask_b32_e32 v13, v17, v8, vcc_lo
	v_cmpx_ngt_f64_e32 v[10:11], v[12:13]
	s_xor_b32 s1, exec_lo, s1
	s_cbranch_execz .LBB50_26
; %bb.23:                               ;   in Loop: Header=BB50_10 Depth=2
	v_mov_b32_e32 v14, 0
	v_mov_b32_e32 v15, 0
	s_mov_b32 s42, exec_lo
	v_cmpx_neq_f64_e32 0, v[16:17]
	s_cbranch_execz .LBB50_25
; %bb.24:                               ;   in Loop: Header=BB50_10 Depth=2
	v_div_scale_f64 v[14:15], null, v[12:13], v[12:13], v[10:11]
	v_div_scale_f64 v[28:29], vcc_lo, v[10:11], v[12:13], v[10:11]
	v_rcp_f64_e32 v[16:17], v[14:15]
	v_fma_f64 v[18:19], -v[14:15], v[16:17], 1.0
	v_fma_f64 v[16:17], v[16:17], v[18:19], v[16:17]
	v_fma_f64 v[18:19], -v[14:15], v[16:17], 1.0
	v_fma_f64 v[16:17], v[16:17], v[18:19], v[16:17]
	v_mul_f64 v[18:19], v[28:29], v[16:17]
	v_fma_f64 v[14:15], -v[14:15], v[18:19], v[28:29]
	v_div_fmas_f64 v[14:15], v[14:15], v[16:17], v[18:19]
	v_div_fixup_f64 v[10:11], v[14:15], v[12:13], v[10:11]
	v_fma_f64 v[10:11], v[10:11], v[10:11], 1.0
	v_cmp_gt_f64_e32 vcc_lo, 0x10000000, v[10:11]
	v_cndmask_b32_e64 v5, 0, 0x100, vcc_lo
	v_ldexp_f64 v[10:11], v[10:11], v5
	v_cndmask_b32_e64 v5, 0, 0xffffff80, vcc_lo
	v_rsq_f64_e32 v[14:15], v[10:11]
	v_cmp_class_f64_e64 vcc_lo, v[10:11], 0x260
	v_mul_f64 v[16:17], v[10:11], v[14:15]
	v_mul_f64 v[14:15], v[14:15], 0.5
	v_fma_f64 v[18:19], -v[14:15], v[16:17], 0.5
	v_fma_f64 v[16:17], v[16:17], v[18:19], v[16:17]
	v_fma_f64 v[14:15], v[14:15], v[18:19], v[14:15]
	v_fma_f64 v[18:19], -v[16:17], v[16:17], v[10:11]
	v_fma_f64 v[16:17], v[18:19], v[14:15], v[16:17]
	v_fma_f64 v[18:19], -v[16:17], v[16:17], v[10:11]
	v_fma_f64 v[14:15], v[18:19], v[14:15], v[16:17]
	v_ldexp_f64 v[14:15], v[14:15], v5
	v_cndmask_b32_e32 v11, v15, v11, vcc_lo
	v_cndmask_b32_e32 v10, v14, v10, vcc_lo
	v_mul_f64 v[14:15], v[12:13], v[10:11]
.LBB50_25:                              ;   in Loop: Header=BB50_10 Depth=2
	s_or_b32 exec_lo, exec_lo, s42
                                        ; implicit-def: $vgpr10_vgpr11
                                        ; implicit-def: $vgpr12_vgpr13
.LBB50_26:                              ;   in Loop: Header=BB50_10 Depth=2
	s_andn2_saveexec_b32 s1, s1
	s_cbranch_execz .LBB50_9
; %bb.27:                               ;   in Loop: Header=BB50_10 Depth=2
	v_div_scale_f64 v[14:15], null, v[10:11], v[10:11], v[12:13]
	v_div_scale_f64 v[28:29], vcc_lo, v[12:13], v[10:11], v[12:13]
	v_rcp_f64_e32 v[16:17], v[14:15]
	v_fma_f64 v[18:19], -v[14:15], v[16:17], 1.0
	v_fma_f64 v[16:17], v[16:17], v[18:19], v[16:17]
	v_fma_f64 v[18:19], -v[14:15], v[16:17], 1.0
	v_fma_f64 v[16:17], v[16:17], v[18:19], v[16:17]
	v_mul_f64 v[18:19], v[28:29], v[16:17]
	v_fma_f64 v[14:15], -v[14:15], v[18:19], v[28:29]
	v_div_fmas_f64 v[14:15], v[14:15], v[16:17], v[18:19]
	v_div_fixup_f64 v[12:13], v[14:15], v[10:11], v[12:13]
	v_fma_f64 v[12:13], v[12:13], v[12:13], 1.0
	v_cmp_gt_f64_e32 vcc_lo, 0x10000000, v[12:13]
	v_cndmask_b32_e64 v5, 0, 0x100, vcc_lo
	v_ldexp_f64 v[12:13], v[12:13], v5
	v_cndmask_b32_e64 v5, 0, 0xffffff80, vcc_lo
	v_rsq_f64_e32 v[14:15], v[12:13]
	v_cmp_class_f64_e64 vcc_lo, v[12:13], 0x260
	v_mul_f64 v[16:17], v[12:13], v[14:15]
	v_mul_f64 v[14:15], v[14:15], 0.5
	v_fma_f64 v[18:19], -v[14:15], v[16:17], 0.5
	v_fma_f64 v[16:17], v[16:17], v[18:19], v[16:17]
	v_fma_f64 v[14:15], v[14:15], v[18:19], v[14:15]
	v_fma_f64 v[18:19], -v[16:17], v[16:17], v[12:13]
	v_fma_f64 v[16:17], v[18:19], v[14:15], v[16:17]
	v_fma_f64 v[18:19], -v[16:17], v[16:17], v[12:13]
	v_fma_f64 v[14:15], v[18:19], v[14:15], v[16:17]
	v_ldexp_f64 v[14:15], v[14:15], v5
	v_cndmask_b32_e32 v13, v15, v13, vcc_lo
	v_cndmask_b32_e32 v12, v14, v12, vcc_lo
	v_mul_f64 v[14:15], v[10:11], v[12:13]
	s_branch .LBB50_9
.LBB50_28:                              ;   in Loop: Header=BB50_10 Depth=2
	s_mov_b32 s42, exec_lo
	v_cmpx_lt_i32_e64 v5, v23
	s_cbranch_execz .LBB50_36
; %bb.29:                               ;   in Loop: Header=BB50_10 Depth=2
	s_mov_b32 s44, 0
                                        ; implicit-def: $sgpr43
                                        ; implicit-def: $sgpr46
                                        ; implicit-def: $sgpr45
	s_inst_prefetch 0x1
	s_branch .LBB50_31
	.p2align	6
.LBB50_30:                              ;   in Loop: Header=BB50_31 Depth=3
	s_or_b32 exec_lo, exec_lo, s47
	s_and_b32 s47, exec_lo, s46
	s_or_b32 s44, s47, s44
	s_andn2_b32 s43, s43, exec_lo
	s_and_b32 s47, s45, exec_lo
	s_or_b32 s43, s43, s47
	s_andn2_b32 exec_lo, exec_lo, s44
	s_cbranch_execz .LBB50_33
.LBB50_31:                              ;   Parent Loop BB50_6 Depth=1
                                        ;     Parent Loop BB50_10 Depth=2
                                        ; =>    This Inner Loop Header: Depth=3
	v_add_nc_u32_e32 v16, v9, v5
	s_or_b32 s45, s45, exec_lo
	s_or_b32 s46, s46, exec_lo
	s_mov_b32 s47, exec_lo
	v_ashrrev_i32_e32 v17, 31, v16
	v_lshlrev_b64 v[18:19], 2, v[16:17]
	v_add_co_u32 v18, vcc_lo, s20, v18
	v_add_co_ci_u32_e64 v19, null, s21, v19, vcc_lo
	global_load_dword v18, v[18:19], off
	s_waitcnt vmcnt(0)
	v_subrev_nc_u32_e32 v18, s36, v18
	v_cmpx_ne_u32_e64 v18, v10
	s_cbranch_execz .LBB50_30
; %bb.32:                               ;   in Loop: Header=BB50_31 Depth=3
	v_add_nc_u32_e32 v5, 1, v5
	s_andn2_b32 s46, s46, exec_lo
	s_andn2_b32 s45, s45, exec_lo
	v_cmp_ge_i32_e32 vcc_lo, v5, v23
	s_and_b32 s48, vcc_lo, exec_lo
	s_or_b32 s46, s46, s48
	s_branch .LBB50_30
.LBB50_33:                              ;   in Loop: Header=BB50_10 Depth=2
	s_inst_prefetch 0x2
	s_or_b32 exec_lo, exec_lo, s44
	s_and_saveexec_b32 s44, s43
	s_xor_b32 s43, exec_lo, s44
	s_cbranch_execz .LBB50_35
; %bb.34:                               ;   in Loop: Header=BB50_10 Depth=2
	v_lshlrev_b64 v[18:19], 4, v[10:11]
	v_lshlrev_b64 v[16:17], 4, v[16:17]
	v_add_co_u32 v18, vcc_lo, s2, v18
	v_add_co_ci_u32_e64 v19, null, s3, v19, vcc_lo
	v_add_co_u32 v28, vcc_lo, s22, v16
	v_add_co_ci_u32_e64 v29, null, s23, v17, vcc_lo
	global_load_dwordx4 v[16:19], v[18:19], off
	global_load_dwordx4 v[28:31], v[28:29], off
	s_waitcnt vmcnt(0)
	v_mul_f64 v[32:33], v[18:19], -v[30:31]
	v_mul_f64 v[18:19], v[18:19], v[28:29]
	v_fma_f64 v[28:29], v[28:29], v[16:17], v[32:33]
	v_fma_f64 v[16:17], v[30:31], v[16:17], v[18:19]
	v_add_f64 v[12:13], v[12:13], v[28:29]
	v_add_f64 v[14:15], v[14:15], v[16:17]
.LBB50_35:                              ;   in Loop: Header=BB50_10 Depth=2
	s_or_b32 exec_lo, exec_lo, s43
.LBB50_36:                              ;   in Loop: Header=BB50_10 Depth=2
	s_or_b32 exec_lo, exec_lo, s42
                                        ; implicit-def: $vgpr17
                                        ; implicit-def: $vgpr16
                                        ; implicit-def: $vgpr28
	s_andn2_saveexec_b32 s1, s1
	s_cbranch_execz .LBB50_20
.LBB50_37:                              ;   in Loop: Header=BB50_10 Depth=2
	s_mov_b32 s43, 0
                                        ; implicit-def: $sgpr42
                                        ; implicit-def: $sgpr45
                                        ; implicit-def: $sgpr44
	s_inst_prefetch 0x1
	s_branch .LBB50_39
	.p2align	6
.LBB50_38:                              ;   in Loop: Header=BB50_39 Depth=3
	s_or_b32 exec_lo, exec_lo, s46
	s_and_b32 s46, exec_lo, s45
	s_or_b32 s43, s46, s43
	s_andn2_b32 s42, s42, exec_lo
	s_and_b32 s46, s44, exec_lo
	s_or_b32 s42, s42, s46
	s_andn2_b32 exec_lo, exec_lo, s43
	s_cbranch_execz .LBB50_41
.LBB50_39:                              ;   Parent Loop BB50_6 Depth=1
                                        ;     Parent Loop BB50_10 Depth=2
                                        ; =>    This Inner Loop Header: Depth=3
	v_add_nc_u32_e32 v18, v16, v17
	s_or_b32 s44, s44, exec_lo
	s_or_b32 s45, s45, exec_lo
	s_mov_b32 s46, exec_lo
	v_ashrrev_i32_e32 v19, 31, v18
	v_lshlrev_b64 v[29:30], 2, v[18:19]
	v_add_co_u32 v29, vcc_lo, s12, v29
	v_add_co_ci_u32_e64 v30, null, s13, v30, vcc_lo
	global_load_dword v5, v[29:30], off
	s_waitcnt vmcnt(0)
	v_subrev_nc_u32_e32 v5, s37, v5
	v_cmpx_ne_u32_e64 v5, v1
	s_cbranch_execz .LBB50_38
; %bb.40:                               ;   in Loop: Header=BB50_39 Depth=3
	v_add_nc_u32_e32 v17, 1, v17
	s_andn2_b32 s45, s45, exec_lo
	s_andn2_b32 s44, s44, exec_lo
	v_cmp_ge_i32_e32 vcc_lo, v17, v28
	s_and_b32 s47, vcc_lo, exec_lo
	s_or_b32 s45, s45, s47
	s_branch .LBB50_38
.LBB50_41:                              ;   in Loop: Header=BB50_10 Depth=2
	s_inst_prefetch 0x2
	s_or_b32 exec_lo, exec_lo, s43
	s_and_saveexec_b32 s43, s42
	s_xor_b32 s42, exec_lo, s43
	s_cbranch_execz .LBB50_43
; %bb.42:                               ;   in Loop: Header=BB50_10 Depth=2
	v_lshlrev_b64 v[16:17], 4, v[18:19]
	v_add_co_u32 v16, vcc_lo, s14, v16
	v_add_co_ci_u32_e64 v17, null, s15, v17, vcc_lo
	global_load_dwordx4 v[16:19], v[16:17], off
	s_waitcnt vmcnt(0)
	v_add_f64 v[12:13], v[12:13], v[16:17]
	v_add_f64 v[14:15], v[14:15], v[18:19]
.LBB50_43:                              ;   in Loop: Header=BB50_10 Depth=2
	s_or_b32 exec_lo, exec_lo, s42
	s_or_b32 exec_lo, exec_lo, s1
	s_mov_b32 s1, exec_lo
	v_cmpx_eq_u32_e64 v1, v10
	s_cbranch_execnz .LBB50_21
	s_branch .LBB50_22
.LBB50_44:
	s_or_b32 exec_lo, exec_lo, s38
.LBB50_45:
	s_or_b32 exec_lo, exec_lo, s33
.LBB50_46:
	s_or_b32 exec_lo, exec_lo, s6
	v_mbcnt_lo_u32_b32 v1, -1, 0
	s_mov_b32 s0, exec_lo
	v_xor_b32_e32 v2, 1, v1
	v_cmp_gt_i32_e32 vcc_lo, 32, v2
	v_cndmask_b32_e32 v1, v1, v2, vcc_lo
	v_lshlrev_b32_e32 v2, 2, v1
	ds_bpermute_b32 v1, v2, v3
	ds_bpermute_b32 v5, v2, v4
	v_cmpx_ne_u32_e32 0, v21
	s_cbranch_execz .LBB50_48
; %bb.47:
	s_waitcnt lgkmcnt(0)
	v_mov_b32_e32 v2, v5
	v_lshlrev_b32_e32 v6, 3, v20
	v_cmp_lt_f64_e32 vcc_lo, v[3:4], v[1:2]
	v_cndmask_b32_e32 v2, v4, v5, vcc_lo
	v_cndmask_b32_e32 v1, v3, v1, vcc_lo
	ds_write_b64 v6, v[1:2]
.LBB50_48:
	s_or_b32 exec_lo, exec_lo, s0
	s_waitcnt lgkmcnt(1)
	v_lshlrev_b32_e32 v1, 3, v0
	s_mov_b32 s0, exec_lo
	s_waitcnt lgkmcnt(0)
	s_barrier
	buffer_gl0_inv
	v_cmpx_gt_u32_e32 0x100, v0
	s_cbranch_execz .LBB50_50
; %bb.49:
	ds_read2st64_b64 v[2:5], v1 offset1:4
	s_waitcnt lgkmcnt(0)
	v_cmp_lt_f64_e32 vcc_lo, v[2:3], v[4:5]
	v_cndmask_b32_e32 v3, v3, v5, vcc_lo
	v_cndmask_b32_e32 v2, v2, v4, vcc_lo
	ds_write_b64 v1, v[2:3]
.LBB50_50:
	s_or_b32 exec_lo, exec_lo, s0
	s_mov_b32 s0, exec_lo
	s_waitcnt lgkmcnt(0)
	s_barrier
	buffer_gl0_inv
	v_cmpx_gt_u32_e32 0x80, v0
	s_cbranch_execz .LBB50_52
; %bb.51:
	ds_read2st64_b64 v[2:5], v1 offset1:2
	s_waitcnt lgkmcnt(0)
	v_cmp_lt_f64_e32 vcc_lo, v[2:3], v[4:5]
	v_cndmask_b32_e32 v3, v3, v5, vcc_lo
	v_cndmask_b32_e32 v2, v2, v4, vcc_lo
	ds_write_b64 v1, v[2:3]
.LBB50_52:
	s_or_b32 exec_lo, exec_lo, s0
	;; [unrolled: 15-line block ×3, first 2 shown]
	s_mov_b32 s0, exec_lo
	s_waitcnt lgkmcnt(0)
	s_barrier
	buffer_gl0_inv
	v_cmpx_gt_u32_e32 32, v0
	s_cbranch_execz .LBB50_56
; %bb.55:
	ds_read2_b64 v[2:5], v1 offset1:32
	s_waitcnt lgkmcnt(0)
	v_cmp_lt_f64_e32 vcc_lo, v[2:3], v[4:5]
	v_cndmask_b32_e32 v3, v3, v5, vcc_lo
	v_cndmask_b32_e32 v2, v2, v4, vcc_lo
	ds_write_b64 v1, v[2:3]
.LBB50_56:
	s_or_b32 exec_lo, exec_lo, s0
	s_mov_b32 s0, exec_lo
	s_waitcnt lgkmcnt(0)
	s_barrier
	buffer_gl0_inv
	v_cmpx_gt_u32_e32 16, v0
	s_cbranch_execz .LBB50_58
; %bb.57:
	ds_read2_b64 v[2:5], v1 offset1:16
	s_waitcnt lgkmcnt(0)
	v_cmp_lt_f64_e32 vcc_lo, v[2:3], v[4:5]
	v_cndmask_b32_e32 v3, v3, v5, vcc_lo
	v_cndmask_b32_e32 v2, v2, v4, vcc_lo
	ds_write_b64 v1, v[2:3]
.LBB50_58:
	s_or_b32 exec_lo, exec_lo, s0
	s_mov_b32 s0, exec_lo
	s_waitcnt lgkmcnt(0)
	s_barrier
	buffer_gl0_inv
	v_cmpx_gt_u32_e32 8, v0
	s_cbranch_execz .LBB50_60
; %bb.59:
	ds_read2_b64 v[2:5], v1 offset1:8
	s_waitcnt lgkmcnt(0)
	v_cmp_lt_f64_e32 vcc_lo, v[2:3], v[4:5]
	v_cndmask_b32_e32 v3, v3, v5, vcc_lo
	v_cndmask_b32_e32 v2, v2, v4, vcc_lo
	ds_write_b64 v1, v[2:3]
.LBB50_60:
	s_or_b32 exec_lo, exec_lo, s0
	s_mov_b32 s0, exec_lo
	s_waitcnt lgkmcnt(0)
	s_barrier
	buffer_gl0_inv
	v_cmpx_gt_u32_e32 4, v0
	s_cbranch_execz .LBB50_62
; %bb.61:
	ds_read2_b64 v[2:5], v1 offset1:4
	s_waitcnt lgkmcnt(0)
	v_cmp_lt_f64_e32 vcc_lo, v[2:3], v[4:5]
	v_cndmask_b32_e32 v3, v3, v5, vcc_lo
	v_cndmask_b32_e32 v2, v2, v4, vcc_lo
	ds_write_b64 v1, v[2:3]
.LBB50_62:
	s_or_b32 exec_lo, exec_lo, s0
	s_mov_b32 s0, exec_lo
	s_waitcnt lgkmcnt(0)
	s_barrier
	buffer_gl0_inv
	v_cmpx_gt_u32_e32 2, v0
	s_cbranch_execz .LBB50_64
; %bb.63:
	ds_read2_b64 v[2:5], v1 offset1:2
	s_waitcnt lgkmcnt(0)
	v_cmp_lt_f64_e32 vcc_lo, v[2:3], v[4:5]
	v_cndmask_b32_e32 v3, v3, v5, vcc_lo
	v_cndmask_b32_e32 v2, v2, v4, vcc_lo
	ds_write_b64 v1, v[2:3]
.LBB50_64:
	s_or_b32 exec_lo, exec_lo, s0
	v_cmp_eq_u32_e32 vcc_lo, 0, v0
	s_waitcnt lgkmcnt(0)
	s_barrier
	buffer_gl0_inv
	s_and_saveexec_b32 s1, vcc_lo
	s_cbranch_execz .LBB50_66
; %bb.65:
	v_mov_b32_e32 v4, 0
	ds_read_b128 v[0:3], v4
	s_waitcnt lgkmcnt(0)
	v_cmp_lt_f64_e64 s0, v[0:1], v[2:3]
	v_cndmask_b32_e64 v1, v1, v3, s0
	v_cndmask_b32_e64 v0, v0, v2, s0
	ds_write_b64 v4, v[0:1]
.LBB50_66:
	s_or_b32 exec_lo, exec_lo, s1
	s_waitcnt lgkmcnt(0)
	s_barrier
	buffer_gl0_inv
	s_and_saveexec_b32 s0, vcc_lo
	s_cbranch_execz .LBB50_70
; %bb.67:
	v_mbcnt_lo_u32_b32 v0, exec_lo, 0
	s_mov_b32 s6, 0
	v_cmp_eq_u32_e32 vcc_lo, 0, v0
	s_and_b32 exec_lo, exec_lo, vcc_lo
	s_cbranch_execz .LBB50_70
; %bb.68:
	s_load_dwordx4 s[0:3], s[4:5], 0x88
	v_mov_b32_e32 v6, 0
	ds_read_b64 v[0:1], v6
	s_waitcnt lgkmcnt(0)
	s_load_dwordx2 s[2:3], s[2:3], 0x0
	s_waitcnt lgkmcnt(0)
	v_div_scale_f64 v[2:3], null, s[2:3], s[2:3], v[0:1]
	v_rcp_f64_e32 v[4:5], v[2:3]
	v_fma_f64 v[7:8], -v[2:3], v[4:5], 1.0
	v_fma_f64 v[4:5], v[4:5], v[7:8], v[4:5]
	v_fma_f64 v[7:8], -v[2:3], v[4:5], 1.0
	v_fma_f64 v[4:5], v[4:5], v[7:8], v[4:5]
	v_div_scale_f64 v[7:8], vcc_lo, v[0:1], s[2:3], v[0:1]
	v_mul_f64 v[9:10], v[7:8], v[4:5]
	v_fma_f64 v[2:3], -v[2:3], v[9:10], v[7:8]
	v_div_fmas_f64 v[2:3], v[2:3], v[4:5], v[9:10]
	v_div_fixup_f64 v[0:1], v[2:3], s[2:3], v[0:1]
	s_load_dwordx2 s[2:3], s[0:1], 0x0
	s_waitcnt lgkmcnt(0)
	v_mov_b32_e32 v2, s2
	v_max_f64 v[4:5], v[0:1], v[0:1]
	v_mov_b32_e32 v3, s3
.LBB50_69:                              ; =>This Inner Loop Header: Depth=1
	v_max_f64 v[0:1], v[2:3], v[2:3]
	v_max_f64 v[0:1], v[0:1], v[4:5]
	global_atomic_cmpswap_x2 v[0:1], v6, v[0:3], s[0:1] glc
	s_waitcnt vmcnt(0)
	v_cmp_eq_u64_e32 vcc_lo, v[0:1], v[2:3]
	v_mov_b32_e32 v3, v1
	v_mov_b32_e32 v2, v0
	s_or_b32 s6, vcc_lo, s6
	s_andn2_b32 exec_lo, exec_lo, s6
	s_cbranch_execnz .LBB50_69
.LBB50_70:
	s_endpgm
	.section	.rodata,"a",@progbits
	.p2align	6, 0x0
	.amdhsa_kernel _ZN9rocsparseL19kernel_nrm_residualILi1024ELi2E21rocsparse_complex_numIdEiiEEvT3_T2_PKS4_S6_PKS3_PKT1_21rocsparse_index_base_S6_S6_S8_SB_SC_S6_S6_S8_SB_SC_SB_PNS_15floating_traitsIS9_E6data_tEPKSF_
		.amdhsa_group_segment_fixed_size 4096
		.amdhsa_private_segment_fixed_size 0
		.amdhsa_kernarg_size 152
		.amdhsa_user_sgpr_count 6
		.amdhsa_user_sgpr_private_segment_buffer 1
		.amdhsa_user_sgpr_dispatch_ptr 0
		.amdhsa_user_sgpr_queue_ptr 0
		.amdhsa_user_sgpr_kernarg_segment_ptr 1
		.amdhsa_user_sgpr_dispatch_id 0
		.amdhsa_user_sgpr_flat_scratch_init 0
		.amdhsa_user_sgpr_private_segment_size 0
		.amdhsa_wavefront_size32 1
		.amdhsa_uses_dynamic_stack 0
		.amdhsa_system_sgpr_private_segment_wavefront_offset 0
		.amdhsa_system_sgpr_workgroup_id_x 1
		.amdhsa_system_sgpr_workgroup_id_y 0
		.amdhsa_system_sgpr_workgroup_id_z 0
		.amdhsa_system_sgpr_workgroup_info 0
		.amdhsa_system_vgpr_workitem_id 0
		.amdhsa_next_free_vgpr 42
		.amdhsa_next_free_sgpr 49
		.amdhsa_reserve_vcc 1
		.amdhsa_reserve_flat_scratch 0
		.amdhsa_float_round_mode_32 0
		.amdhsa_float_round_mode_16_64 0
		.amdhsa_float_denorm_mode_32 3
		.amdhsa_float_denorm_mode_16_64 3
		.amdhsa_dx10_clamp 1
		.amdhsa_ieee_mode 1
		.amdhsa_fp16_overflow 0
		.amdhsa_workgroup_processor_mode 1
		.amdhsa_memory_ordered 1
		.amdhsa_forward_progress 1
		.amdhsa_shared_vgpr_count 0
		.amdhsa_exception_fp_ieee_invalid_op 0
		.amdhsa_exception_fp_denorm_src 0
		.amdhsa_exception_fp_ieee_div_zero 0
		.amdhsa_exception_fp_ieee_overflow 0
		.amdhsa_exception_fp_ieee_underflow 0
		.amdhsa_exception_fp_ieee_inexact 0
		.amdhsa_exception_int_div_zero 0
	.end_amdhsa_kernel
	.section	.text._ZN9rocsparseL19kernel_nrm_residualILi1024ELi2E21rocsparse_complex_numIdEiiEEvT3_T2_PKS4_S6_PKS3_PKT1_21rocsparse_index_base_S6_S6_S8_SB_SC_S6_S6_S8_SB_SC_SB_PNS_15floating_traitsIS9_E6data_tEPKSF_,"axG",@progbits,_ZN9rocsparseL19kernel_nrm_residualILi1024ELi2E21rocsparse_complex_numIdEiiEEvT3_T2_PKS4_S6_PKS3_PKT1_21rocsparse_index_base_S6_S6_S8_SB_SC_S6_S6_S8_SB_SC_SB_PNS_15floating_traitsIS9_E6data_tEPKSF_,comdat
.Lfunc_end50:
	.size	_ZN9rocsparseL19kernel_nrm_residualILi1024ELi2E21rocsparse_complex_numIdEiiEEvT3_T2_PKS4_S6_PKS3_PKT1_21rocsparse_index_base_S6_S6_S8_SB_SC_S6_S6_S8_SB_SC_SB_PNS_15floating_traitsIS9_E6data_tEPKSF_, .Lfunc_end50-_ZN9rocsparseL19kernel_nrm_residualILi1024ELi2E21rocsparse_complex_numIdEiiEEvT3_T2_PKS4_S6_PKS3_PKT1_21rocsparse_index_base_S6_S6_S8_SB_SC_S6_S6_S8_SB_SC_SB_PNS_15floating_traitsIS9_E6data_tEPKSF_
                                        ; -- End function
	.set _ZN9rocsparseL19kernel_nrm_residualILi1024ELi2E21rocsparse_complex_numIdEiiEEvT3_T2_PKS4_S6_PKS3_PKT1_21rocsparse_index_base_S6_S6_S8_SB_SC_S6_S6_S8_SB_SC_SB_PNS_15floating_traitsIS9_E6data_tEPKSF_.num_vgpr, 42
	.set _ZN9rocsparseL19kernel_nrm_residualILi1024ELi2E21rocsparse_complex_numIdEiiEEvT3_T2_PKS4_S6_PKS3_PKT1_21rocsparse_index_base_S6_S6_S8_SB_SC_S6_S6_S8_SB_SC_SB_PNS_15floating_traitsIS9_E6data_tEPKSF_.num_agpr, 0
	.set _ZN9rocsparseL19kernel_nrm_residualILi1024ELi2E21rocsparse_complex_numIdEiiEEvT3_T2_PKS4_S6_PKS3_PKT1_21rocsparse_index_base_S6_S6_S8_SB_SC_S6_S6_S8_SB_SC_SB_PNS_15floating_traitsIS9_E6data_tEPKSF_.numbered_sgpr, 49
	.set _ZN9rocsparseL19kernel_nrm_residualILi1024ELi2E21rocsparse_complex_numIdEiiEEvT3_T2_PKS4_S6_PKS3_PKT1_21rocsparse_index_base_S6_S6_S8_SB_SC_S6_S6_S8_SB_SC_SB_PNS_15floating_traitsIS9_E6data_tEPKSF_.num_named_barrier, 0
	.set _ZN9rocsparseL19kernel_nrm_residualILi1024ELi2E21rocsparse_complex_numIdEiiEEvT3_T2_PKS4_S6_PKS3_PKT1_21rocsparse_index_base_S6_S6_S8_SB_SC_S6_S6_S8_SB_SC_SB_PNS_15floating_traitsIS9_E6data_tEPKSF_.private_seg_size, 0
	.set _ZN9rocsparseL19kernel_nrm_residualILi1024ELi2E21rocsparse_complex_numIdEiiEEvT3_T2_PKS4_S6_PKS3_PKT1_21rocsparse_index_base_S6_S6_S8_SB_SC_S6_S6_S8_SB_SC_SB_PNS_15floating_traitsIS9_E6data_tEPKSF_.uses_vcc, 1
	.set _ZN9rocsparseL19kernel_nrm_residualILi1024ELi2E21rocsparse_complex_numIdEiiEEvT3_T2_PKS4_S6_PKS3_PKT1_21rocsparse_index_base_S6_S6_S8_SB_SC_S6_S6_S8_SB_SC_SB_PNS_15floating_traitsIS9_E6data_tEPKSF_.uses_flat_scratch, 0
	.set _ZN9rocsparseL19kernel_nrm_residualILi1024ELi2E21rocsparse_complex_numIdEiiEEvT3_T2_PKS4_S6_PKS3_PKT1_21rocsparse_index_base_S6_S6_S8_SB_SC_S6_S6_S8_SB_SC_SB_PNS_15floating_traitsIS9_E6data_tEPKSF_.has_dyn_sized_stack, 0
	.set _ZN9rocsparseL19kernel_nrm_residualILi1024ELi2E21rocsparse_complex_numIdEiiEEvT3_T2_PKS4_S6_PKS3_PKT1_21rocsparse_index_base_S6_S6_S8_SB_SC_S6_S6_S8_SB_SC_SB_PNS_15floating_traitsIS9_E6data_tEPKSF_.has_recursion, 0
	.set _ZN9rocsparseL19kernel_nrm_residualILi1024ELi2E21rocsparse_complex_numIdEiiEEvT3_T2_PKS4_S6_PKS3_PKT1_21rocsparse_index_base_S6_S6_S8_SB_SC_S6_S6_S8_SB_SC_SB_PNS_15floating_traitsIS9_E6data_tEPKSF_.has_indirect_call, 0
	.section	.AMDGPU.csdata,"",@progbits
; Kernel info:
; codeLenInByte = 3368
; TotalNumSgprs: 51
; NumVgprs: 42
; ScratchSize: 0
; MemoryBound: 1
; FloatMode: 240
; IeeeMode: 1
; LDSByteSize: 4096 bytes/workgroup (compile time only)
; SGPRBlocks: 0
; VGPRBlocks: 5
; NumSGPRsForWavesPerEU: 51
; NumVGPRsForWavesPerEU: 42
; Occupancy: 16
; WaveLimiterHint : 1
; COMPUTE_PGM_RSRC2:SCRATCH_EN: 0
; COMPUTE_PGM_RSRC2:USER_SGPR: 6
; COMPUTE_PGM_RSRC2:TRAP_HANDLER: 0
; COMPUTE_PGM_RSRC2:TGID_X_EN: 1
; COMPUTE_PGM_RSRC2:TGID_Y_EN: 0
; COMPUTE_PGM_RSRC2:TGID_Z_EN: 0
; COMPUTE_PGM_RSRC2:TIDIG_COMP_CNT: 0
	.section	.text._ZN9rocsparseL19kernel_nrm_residualILi1024ELi4E21rocsparse_complex_numIdEiiEEvT3_T2_PKS4_S6_PKS3_PKT1_21rocsparse_index_base_S6_S6_S8_SB_SC_S6_S6_S8_SB_SC_SB_PNS_15floating_traitsIS9_E6data_tEPKSF_,"axG",@progbits,_ZN9rocsparseL19kernel_nrm_residualILi1024ELi4E21rocsparse_complex_numIdEiiEEvT3_T2_PKS4_S6_PKS3_PKT1_21rocsparse_index_base_S6_S6_S8_SB_SC_S6_S6_S8_SB_SC_SB_PNS_15floating_traitsIS9_E6data_tEPKSF_,comdat
	.globl	_ZN9rocsparseL19kernel_nrm_residualILi1024ELi4E21rocsparse_complex_numIdEiiEEvT3_T2_PKS4_S6_PKS3_PKT1_21rocsparse_index_base_S6_S6_S8_SB_SC_S6_S6_S8_SB_SC_SB_PNS_15floating_traitsIS9_E6data_tEPKSF_ ; -- Begin function _ZN9rocsparseL19kernel_nrm_residualILi1024ELi4E21rocsparse_complex_numIdEiiEEvT3_T2_PKS4_S6_PKS3_PKT1_21rocsparse_index_base_S6_S6_S8_SB_SC_S6_S6_S8_SB_SC_SB_PNS_15floating_traitsIS9_E6data_tEPKSF_
	.p2align	8
	.type	_ZN9rocsparseL19kernel_nrm_residualILi1024ELi4E21rocsparse_complex_numIdEiiEEvT3_T2_PKS4_S6_PKS3_PKT1_21rocsparse_index_base_S6_S6_S8_SB_SC_S6_S6_S8_SB_SC_SB_PNS_15floating_traitsIS9_E6data_tEPKSF_,@function
_ZN9rocsparseL19kernel_nrm_residualILi1024ELi4E21rocsparse_complex_numIdEiiEEvT3_T2_PKS4_S6_PKS3_PKT1_21rocsparse_index_base_S6_S6_S8_SB_SC_S6_S6_S8_SB_SC_SB_PNS_15floating_traitsIS9_E6data_tEPKSF_: ; @_ZN9rocsparseL19kernel_nrm_residualILi1024ELi4E21rocsparse_complex_numIdEiiEEvT3_T2_PKS4_S6_PKS3_PKT1_21rocsparse_index_base_S6_S6_S8_SB_SC_S6_S6_S8_SB_SC_SB_PNS_15floating_traitsIS9_E6data_tEPKSF_
; %bb.0:
	s_load_dword s7, s[4:5], 0x0
	v_lshrrev_b32_e32 v20, 2, v0
	s_lshl_b32 s34, s6, 10
	v_mov_b32_e32 v3, 0
	v_and_b32_e32 v21, 3, v0
	v_mov_b32_e32 v4, 0
	v_or_b32_e32 v1, s34, v20
	s_mov_b32 s6, exec_lo
	s_waitcnt lgkmcnt(0)
	v_cmpx_gt_i32_e64 s7, v1
	s_cbranch_execz .LBB51_46
; %bb.1:
	v_mov_b32_e32 v3, 0
	v_mov_b32_e32 v4, 0
	s_addk_i32 s34, 0x400
	s_mov_b32 s33, exec_lo
	v_cmpx_gt_u32_e64 s34, v1
	s_cbranch_execz .LBB51_45
; %bb.2:
	s_clause 0x6
	s_load_dword s35, s[4:5], 0x28
	s_load_dwordx8 s[8:15], s[4:5], 0x58
	s_load_dwordx8 s[16:23], s[4:5], 0x30
	;; [unrolled: 1-line block ×3, first 2 shown]
	s_load_dword s36, s[4:5], 0x50
	s_load_dwordx2 s[2:3], s[4:5], 0x80
	s_load_dword s37, s[4:5], 0x78
	v_mov_b32_e32 v3, 0
	v_mov_b32_e32 v4, 0
	;; [unrolled: 1-line block ×3, first 2 shown]
	s_mov_b32 s38, 0
	s_waitcnt lgkmcnt(0)
	v_subrev_nc_u32_e32 v22, s35, v21
	s_branch .LBB51_6
.LBB51_3:                               ;   in Loop: Header=BB51_6 Depth=1
	s_or_b32 exec_lo, exec_lo, s41
.LBB51_4:                               ;   in Loop: Header=BB51_6 Depth=1
	s_or_b32 exec_lo, exec_lo, s40
.LBB51_5:                               ;   in Loop: Header=BB51_6 Depth=1
	s_or_b32 exec_lo, exec_lo, s39
	v_add_nc_u32_e32 v1, 0x100, v1
	v_cmp_le_u32_e32 vcc_lo, s34, v1
	s_or_b32 s38, vcc_lo, s38
	s_andn2_b32 exec_lo, exec_lo, s38
	s_cbranch_execz .LBB51_44
.LBB51_6:                               ; =>This Loop Header: Depth=1
                                        ;     Child Loop BB51_10 Depth 2
                                        ;       Child Loop BB51_14 Depth 3
                                        ;       Child Loop BB51_31 Depth 3
	;; [unrolled: 1-line block ×3, first 2 shown]
	s_mov_b32 s39, exec_lo
	v_cmpx_gt_i32_e64 s7, v1
	s_cbranch_execz .LBB51_5
; %bb.7:                                ;   in Loop: Header=BB51_6 Depth=1
	v_ashrrev_i32_e32 v2, 31, v1
	s_mov_b32 s40, exec_lo
	v_lshlrev_b64 v[8:9], 2, v[1:2]
	v_add_co_u32 v10, vcc_lo, s24, v8
	v_add_co_ci_u32_e64 v11, null, s25, v9, vcc_lo
	v_add_co_u32 v12, vcc_lo, s26, v8
	v_add_co_ci_u32_e64 v13, null, s27, v9, vcc_lo
	global_load_dword v2, v[10:11], off
	global_load_dword v5, v[12:13], off
	s_waitcnt vmcnt(1)
	v_add_nc_u32_e32 v7, v22, v2
	s_waitcnt vmcnt(0)
	v_subrev_nc_u32_e32 v2, s35, v5
	v_cmpx_lt_i32_e64 v7, v2
	s_cbranch_execz .LBB51_4
; %bb.8:                                ;   in Loop: Header=BB51_6 Depth=1
	v_add_co_u32 v10, vcc_lo, s16, v8
	v_add_co_ci_u32_e64 v11, null, s17, v9, vcc_lo
	v_add_co_u32 v8, vcc_lo, s18, v8
	v_add_co_ci_u32_e64 v9, null, s19, v9, vcc_lo
	global_load_dword v5, v[10:11], off
	s_mov_b32 s41, 0
	global_load_dword v8, v[8:9], off
	s_waitcnt vmcnt(1)
	v_subrev_nc_u32_e32 v9, s36, v5
	s_waitcnt vmcnt(0)
	v_sub_nc_u32_e32 v23, v8, v5
	v_ashrrev_i32_e32 v10, 31, v9
	v_cmp_lt_i32_e64 s0, 0, v23
	v_lshlrev_b64 v[11:12], 2, v[9:10]
	v_lshlrev_b64 v[13:14], 4, v[9:10]
	v_add_co_u32 v24, vcc_lo, s20, v11
	v_add_co_ci_u32_e64 v25, null, s21, v12, vcc_lo
	v_add_co_u32 v26, vcc_lo, s22, v13
	v_add_co_ci_u32_e64 v27, null, s23, v14, vcc_lo
	s_branch .LBB51_10
.LBB51_9:                               ;   in Loop: Header=BB51_10 Depth=2
	s_or_b32 exec_lo, exec_lo, s1
	v_cmp_nlg_f64_e64 s42, 0x7ff00000, |v[14:15]|
	v_cmp_gt_f64_e32 vcc_lo, v[3:4], v[14:15]
	v_add_nc_u32_e32 v7, 4, v7
	v_cmp_ge_i32_e64 s1, v7, v2
	s_or_b32 vcc_lo, s42, vcc_lo
	s_or_b32 s41, s1, s41
	v_cndmask_b32_e32 v4, v15, v4, vcc_lo
	v_cndmask_b32_e32 v3, v14, v3, vcc_lo
	s_andn2_b32 exec_lo, exec_lo, s41
	s_cbranch_execz .LBB51_3
.LBB51_10:                              ;   Parent Loop BB51_6 Depth=1
                                        ; =>  This Loop Header: Depth=2
                                        ;       Child Loop BB51_14 Depth 3
                                        ;       Child Loop BB51_31 Depth 3
                                        ;       Child Loop BB51_39 Depth 3
	v_ashrrev_i32_e32 v8, 31, v7
	v_lshlrev_b64 v[10:11], 2, v[7:8]
	v_add_co_u32 v10, vcc_lo, s28, v10
	v_add_co_ci_u32_e64 v11, null, s29, v11, vcc_lo
	global_load_dword v5, v[10:11], off
	s_waitcnt vmcnt(0)
	v_subrev_nc_u32_e32 v10, s35, v5
	v_mov_b32_e32 v5, 0
	v_ashrrev_i32_e32 v11, 31, v10
	v_lshlrev_b64 v[12:13], 2, v[10:11]
	v_add_co_u32 v14, vcc_lo, s8, v12
	v_add_co_ci_u32_e64 v15, null, s9, v13, vcc_lo
	v_add_co_u32 v12, vcc_lo, s10, v12
	v_add_co_ci_u32_e64 v13, null, s11, v13, vcc_lo
	global_load_dword v17, v[14:15], off
	global_load_dword v18, v[12:13], off
	v_mov_b32_e32 v12, 0
	v_mov_b32_e32 v14, 0
	;; [unrolled: 1-line block ×4, first 2 shown]
	s_waitcnt vmcnt(1)
	v_subrev_nc_u32_e32 v16, s37, v17
	s_waitcnt vmcnt(0)
	v_sub_nc_u32_e32 v28, v18, v17
	v_mov_b32_e32 v17, v5
	s_and_saveexec_b32 s42, s0
	s_cbranch_execz .LBB51_18
; %bb.11:                               ;   in Loop: Header=BB51_10 Depth=2
	v_ashrrev_i32_e32 v17, 31, v16
	v_mov_b32_e32 v12, 0
	v_mov_b32_e32 v13, 0
	;; [unrolled: 1-line block ×3, first 2 shown]
	s_mov_b32 s43, 0
	v_lshlrev_b64 v[14:15], 2, v[16:17]
	v_lshlrev_b64 v[17:18], 4, v[16:17]
                                        ; implicit-def: $sgpr44
	v_add_co_u32 v19, vcc_lo, s12, v14
	v_add_co_ci_u32_e64 v29, null, s13, v15, vcc_lo
	v_add_co_u32 v30, vcc_lo, s14, v17
	v_mov_b32_e32 v14, 0
	v_add_co_ci_u32_e64 v31, null, s15, v18, vcc_lo
	v_mov_b32_e32 v17, 0
	v_mov_b32_e32 v15, 0
	s_branch .LBB51_14
.LBB51_12:                              ;   in Loop: Header=BB51_14 Depth=3
	s_or_b32 exec_lo, exec_lo, s1
	v_cmp_le_i32_e32 vcc_lo, v32, v33
	v_cmp_ge_i32_e64 s1, v32, v33
	v_add_co_ci_u32_e64 v5, null, 0, v5, vcc_lo
	v_add_co_ci_u32_e64 v17, null, 0, v17, s1
	s_andn2_b32 s1, s44, exec_lo
	v_cmp_ge_i32_e32 vcc_lo, v5, v23
	s_and_b32 s44, vcc_lo, exec_lo
	s_or_b32 s44, s1, s44
.LBB51_13:                              ;   in Loop: Header=BB51_14 Depth=3
	s_or_b32 exec_lo, exec_lo, s45
	s_and_b32 s1, exec_lo, s44
	s_or_b32 s43, s1, s43
	s_andn2_b32 exec_lo, exec_lo, s43
	s_cbranch_execz .LBB51_17
.LBB51_14:                              ;   Parent Loop BB51_6 Depth=1
                                        ;     Parent Loop BB51_10 Depth=2
                                        ; =>    This Inner Loop Header: Depth=3
	s_or_b32 s44, s44, exec_lo
	s_mov_b32 s45, exec_lo
	v_cmpx_lt_i32_e64 v17, v28
	s_cbranch_execz .LBB51_13
; %bb.15:                               ;   in Loop: Header=BB51_14 Depth=3
	v_mov_b32_e32 v18, v6
	v_lshlrev_b64 v[32:33], 2, v[5:6]
	s_mov_b32 s1, exec_lo
	v_lshlrev_b64 v[34:35], 2, v[17:18]
	v_add_co_u32 v32, vcc_lo, v24, v32
	v_add_co_ci_u32_e64 v33, null, v25, v33, vcc_lo
	v_add_co_u32 v34, vcc_lo, v19, v34
	v_add_co_ci_u32_e64 v35, null, v29, v35, vcc_lo
	global_load_dword v32, v[32:33], off
	global_load_dword v33, v[34:35], off
	s_waitcnt vmcnt(1)
	v_subrev_nc_u32_e32 v32, s36, v32
	s_waitcnt vmcnt(0)
	v_subrev_nc_u32_e32 v33, s37, v33
	v_cmpx_eq_u32_e64 v32, v33
	s_cbranch_execz .LBB51_12
; %bb.16:                               ;   in Loop: Header=BB51_14 Depth=3
	v_lshlrev_b64 v[34:35], 4, v[5:6]
	v_lshlrev_b64 v[36:37], 4, v[17:18]
	v_add_co_u32 v34, vcc_lo, v26, v34
	v_add_co_ci_u32_e64 v35, null, v27, v35, vcc_lo
	v_add_co_u32 v38, vcc_lo, v30, v36
	v_add_co_ci_u32_e64 v39, null, v31, v37, vcc_lo
	global_load_dwordx4 v[34:37], v[34:35], off
	global_load_dwordx4 v[38:41], v[38:39], off
	s_waitcnt vmcnt(0)
	v_fma_f64 v[12:13], v[34:35], v[38:39], v[12:13]
	v_fma_f64 v[14:15], v[36:37], v[38:39], v[14:15]
	v_fma_f64 v[12:13], -v[36:37], v[40:41], v[12:13]
	v_fma_f64 v[14:15], v[34:35], v[40:41], v[14:15]
	s_branch .LBB51_12
.LBB51_17:                              ;   in Loop: Header=BB51_10 Depth=2
	s_or_b32 exec_lo, exec_lo, s43
.LBB51_18:                              ;   in Loop: Header=BB51_10 Depth=2
	s_or_b32 exec_lo, exec_lo, s42
	s_mov_b32 s1, exec_lo
	v_cmpx_ge_i32_e64 v17, v28
	s_xor_b32 s1, exec_lo, s1
	s_cbranch_execnz .LBB51_28
; %bb.19:                               ;   in Loop: Header=BB51_10 Depth=2
	s_andn2_saveexec_b32 s1, s1
	s_cbranch_execnz .LBB51_37
.LBB51_20:                              ;   in Loop: Header=BB51_10 Depth=2
	s_or_b32 exec_lo, exec_lo, s1
	s_mov_b32 s1, exec_lo
	v_cmpx_eq_u32_e64 v1, v10
	s_cbranch_execz .LBB51_22
.LBB51_21:                              ;   in Loop: Header=BB51_10 Depth=2
	v_lshlrev_b64 v[10:11], 4, v[10:11]
	v_add_co_u32 v10, vcc_lo, s2, v10
	v_add_co_ci_u32_e64 v11, null, s3, v11, vcc_lo
	global_load_dwordx4 v[16:19], v[10:11], off
	s_waitcnt vmcnt(0)
	v_add_f64 v[12:13], v[12:13], v[16:17]
	v_add_f64 v[14:15], v[14:15], v[18:19]
.LBB51_22:                              ;   in Loop: Header=BB51_10 Depth=2
	s_or_b32 exec_lo, exec_lo, s1
	v_lshlrev_b64 v[10:11], 4, v[7:8]
	s_mov_b32 s1, exec_lo
	v_add_co_u32 v10, vcc_lo, s30, v10
	v_add_co_ci_u32_e64 v11, null, s31, v11, vcc_lo
	global_load_dwordx4 v[16:19], v[10:11], off
	s_waitcnt vmcnt(0)
	v_add_f64 v[10:11], v[16:17], -v[12:13]
	v_add_f64 v[16:17], v[18:19], -v[14:15]
                                        ; implicit-def: $vgpr14_vgpr15
	v_cmp_gt_f64_e32 vcc_lo, 0, v[10:11]
	v_xor_b32_e32 v5, 0x80000000, v11
	v_xor_b32_e32 v8, 0x80000000, v17
	v_mov_b32_e32 v12, v16
	v_cndmask_b32_e32 v11, v11, v5, vcc_lo
	v_cmp_gt_f64_e32 vcc_lo, 0, v[16:17]
	v_cndmask_b32_e32 v13, v17, v8, vcc_lo
	v_cmpx_ngt_f64_e32 v[10:11], v[12:13]
	s_xor_b32 s1, exec_lo, s1
	s_cbranch_execz .LBB51_26
; %bb.23:                               ;   in Loop: Header=BB51_10 Depth=2
	v_mov_b32_e32 v14, 0
	v_mov_b32_e32 v15, 0
	s_mov_b32 s42, exec_lo
	v_cmpx_neq_f64_e32 0, v[16:17]
	s_cbranch_execz .LBB51_25
; %bb.24:                               ;   in Loop: Header=BB51_10 Depth=2
	v_div_scale_f64 v[14:15], null, v[12:13], v[12:13], v[10:11]
	v_div_scale_f64 v[28:29], vcc_lo, v[10:11], v[12:13], v[10:11]
	v_rcp_f64_e32 v[16:17], v[14:15]
	v_fma_f64 v[18:19], -v[14:15], v[16:17], 1.0
	v_fma_f64 v[16:17], v[16:17], v[18:19], v[16:17]
	v_fma_f64 v[18:19], -v[14:15], v[16:17], 1.0
	v_fma_f64 v[16:17], v[16:17], v[18:19], v[16:17]
	v_mul_f64 v[18:19], v[28:29], v[16:17]
	v_fma_f64 v[14:15], -v[14:15], v[18:19], v[28:29]
	v_div_fmas_f64 v[14:15], v[14:15], v[16:17], v[18:19]
	v_div_fixup_f64 v[10:11], v[14:15], v[12:13], v[10:11]
	v_fma_f64 v[10:11], v[10:11], v[10:11], 1.0
	v_cmp_gt_f64_e32 vcc_lo, 0x10000000, v[10:11]
	v_cndmask_b32_e64 v5, 0, 0x100, vcc_lo
	v_ldexp_f64 v[10:11], v[10:11], v5
	v_cndmask_b32_e64 v5, 0, 0xffffff80, vcc_lo
	v_rsq_f64_e32 v[14:15], v[10:11]
	v_cmp_class_f64_e64 vcc_lo, v[10:11], 0x260
	v_mul_f64 v[16:17], v[10:11], v[14:15]
	v_mul_f64 v[14:15], v[14:15], 0.5
	v_fma_f64 v[18:19], -v[14:15], v[16:17], 0.5
	v_fma_f64 v[16:17], v[16:17], v[18:19], v[16:17]
	v_fma_f64 v[14:15], v[14:15], v[18:19], v[14:15]
	v_fma_f64 v[18:19], -v[16:17], v[16:17], v[10:11]
	v_fma_f64 v[16:17], v[18:19], v[14:15], v[16:17]
	v_fma_f64 v[18:19], -v[16:17], v[16:17], v[10:11]
	v_fma_f64 v[14:15], v[18:19], v[14:15], v[16:17]
	v_ldexp_f64 v[14:15], v[14:15], v5
	v_cndmask_b32_e32 v11, v15, v11, vcc_lo
	v_cndmask_b32_e32 v10, v14, v10, vcc_lo
	v_mul_f64 v[14:15], v[12:13], v[10:11]
.LBB51_25:                              ;   in Loop: Header=BB51_10 Depth=2
	s_or_b32 exec_lo, exec_lo, s42
                                        ; implicit-def: $vgpr10_vgpr11
                                        ; implicit-def: $vgpr12_vgpr13
.LBB51_26:                              ;   in Loop: Header=BB51_10 Depth=2
	s_andn2_saveexec_b32 s1, s1
	s_cbranch_execz .LBB51_9
; %bb.27:                               ;   in Loop: Header=BB51_10 Depth=2
	v_div_scale_f64 v[14:15], null, v[10:11], v[10:11], v[12:13]
	v_div_scale_f64 v[28:29], vcc_lo, v[12:13], v[10:11], v[12:13]
	v_rcp_f64_e32 v[16:17], v[14:15]
	v_fma_f64 v[18:19], -v[14:15], v[16:17], 1.0
	v_fma_f64 v[16:17], v[16:17], v[18:19], v[16:17]
	v_fma_f64 v[18:19], -v[14:15], v[16:17], 1.0
	v_fma_f64 v[16:17], v[16:17], v[18:19], v[16:17]
	v_mul_f64 v[18:19], v[28:29], v[16:17]
	v_fma_f64 v[14:15], -v[14:15], v[18:19], v[28:29]
	v_div_fmas_f64 v[14:15], v[14:15], v[16:17], v[18:19]
	v_div_fixup_f64 v[12:13], v[14:15], v[10:11], v[12:13]
	v_fma_f64 v[12:13], v[12:13], v[12:13], 1.0
	v_cmp_gt_f64_e32 vcc_lo, 0x10000000, v[12:13]
	v_cndmask_b32_e64 v5, 0, 0x100, vcc_lo
	v_ldexp_f64 v[12:13], v[12:13], v5
	v_cndmask_b32_e64 v5, 0, 0xffffff80, vcc_lo
	v_rsq_f64_e32 v[14:15], v[12:13]
	v_cmp_class_f64_e64 vcc_lo, v[12:13], 0x260
	v_mul_f64 v[16:17], v[12:13], v[14:15]
	v_mul_f64 v[14:15], v[14:15], 0.5
	v_fma_f64 v[18:19], -v[14:15], v[16:17], 0.5
	v_fma_f64 v[16:17], v[16:17], v[18:19], v[16:17]
	v_fma_f64 v[14:15], v[14:15], v[18:19], v[14:15]
	v_fma_f64 v[18:19], -v[16:17], v[16:17], v[12:13]
	v_fma_f64 v[16:17], v[18:19], v[14:15], v[16:17]
	v_fma_f64 v[18:19], -v[16:17], v[16:17], v[12:13]
	v_fma_f64 v[14:15], v[18:19], v[14:15], v[16:17]
	v_ldexp_f64 v[14:15], v[14:15], v5
	v_cndmask_b32_e32 v13, v15, v13, vcc_lo
	v_cndmask_b32_e32 v12, v14, v12, vcc_lo
	v_mul_f64 v[14:15], v[10:11], v[12:13]
	s_branch .LBB51_9
.LBB51_28:                              ;   in Loop: Header=BB51_10 Depth=2
	s_mov_b32 s42, exec_lo
	v_cmpx_lt_i32_e64 v5, v23
	s_cbranch_execz .LBB51_36
; %bb.29:                               ;   in Loop: Header=BB51_10 Depth=2
	s_mov_b32 s44, 0
                                        ; implicit-def: $sgpr43
                                        ; implicit-def: $sgpr46
                                        ; implicit-def: $sgpr45
	s_inst_prefetch 0x1
	s_branch .LBB51_31
	.p2align	6
.LBB51_30:                              ;   in Loop: Header=BB51_31 Depth=3
	s_or_b32 exec_lo, exec_lo, s47
	s_and_b32 s47, exec_lo, s46
	s_or_b32 s44, s47, s44
	s_andn2_b32 s43, s43, exec_lo
	s_and_b32 s47, s45, exec_lo
	s_or_b32 s43, s43, s47
	s_andn2_b32 exec_lo, exec_lo, s44
	s_cbranch_execz .LBB51_33
.LBB51_31:                              ;   Parent Loop BB51_6 Depth=1
                                        ;     Parent Loop BB51_10 Depth=2
                                        ; =>    This Inner Loop Header: Depth=3
	v_add_nc_u32_e32 v16, v9, v5
	s_or_b32 s45, s45, exec_lo
	s_or_b32 s46, s46, exec_lo
	s_mov_b32 s47, exec_lo
	v_ashrrev_i32_e32 v17, 31, v16
	v_lshlrev_b64 v[18:19], 2, v[16:17]
	v_add_co_u32 v18, vcc_lo, s20, v18
	v_add_co_ci_u32_e64 v19, null, s21, v19, vcc_lo
	global_load_dword v18, v[18:19], off
	s_waitcnt vmcnt(0)
	v_subrev_nc_u32_e32 v18, s36, v18
	v_cmpx_ne_u32_e64 v18, v10
	s_cbranch_execz .LBB51_30
; %bb.32:                               ;   in Loop: Header=BB51_31 Depth=3
	v_add_nc_u32_e32 v5, 1, v5
	s_andn2_b32 s46, s46, exec_lo
	s_andn2_b32 s45, s45, exec_lo
	v_cmp_ge_i32_e32 vcc_lo, v5, v23
	s_and_b32 s48, vcc_lo, exec_lo
	s_or_b32 s46, s46, s48
	s_branch .LBB51_30
.LBB51_33:                              ;   in Loop: Header=BB51_10 Depth=2
	s_inst_prefetch 0x2
	s_or_b32 exec_lo, exec_lo, s44
	s_and_saveexec_b32 s44, s43
	s_xor_b32 s43, exec_lo, s44
	s_cbranch_execz .LBB51_35
; %bb.34:                               ;   in Loop: Header=BB51_10 Depth=2
	v_lshlrev_b64 v[18:19], 4, v[10:11]
	v_lshlrev_b64 v[16:17], 4, v[16:17]
	v_add_co_u32 v18, vcc_lo, s2, v18
	v_add_co_ci_u32_e64 v19, null, s3, v19, vcc_lo
	v_add_co_u32 v28, vcc_lo, s22, v16
	v_add_co_ci_u32_e64 v29, null, s23, v17, vcc_lo
	global_load_dwordx4 v[16:19], v[18:19], off
	global_load_dwordx4 v[28:31], v[28:29], off
	s_waitcnt vmcnt(0)
	v_mul_f64 v[32:33], v[18:19], -v[30:31]
	v_mul_f64 v[18:19], v[18:19], v[28:29]
	v_fma_f64 v[28:29], v[28:29], v[16:17], v[32:33]
	v_fma_f64 v[16:17], v[30:31], v[16:17], v[18:19]
	v_add_f64 v[12:13], v[12:13], v[28:29]
	v_add_f64 v[14:15], v[14:15], v[16:17]
.LBB51_35:                              ;   in Loop: Header=BB51_10 Depth=2
	s_or_b32 exec_lo, exec_lo, s43
.LBB51_36:                              ;   in Loop: Header=BB51_10 Depth=2
	s_or_b32 exec_lo, exec_lo, s42
                                        ; implicit-def: $vgpr17
                                        ; implicit-def: $vgpr16
                                        ; implicit-def: $vgpr28
	s_andn2_saveexec_b32 s1, s1
	s_cbranch_execz .LBB51_20
.LBB51_37:                              ;   in Loop: Header=BB51_10 Depth=2
	s_mov_b32 s43, 0
                                        ; implicit-def: $sgpr42
                                        ; implicit-def: $sgpr45
                                        ; implicit-def: $sgpr44
	s_inst_prefetch 0x1
	s_branch .LBB51_39
	.p2align	6
.LBB51_38:                              ;   in Loop: Header=BB51_39 Depth=3
	s_or_b32 exec_lo, exec_lo, s46
	s_and_b32 s46, exec_lo, s45
	s_or_b32 s43, s46, s43
	s_andn2_b32 s42, s42, exec_lo
	s_and_b32 s46, s44, exec_lo
	s_or_b32 s42, s42, s46
	s_andn2_b32 exec_lo, exec_lo, s43
	s_cbranch_execz .LBB51_41
.LBB51_39:                              ;   Parent Loop BB51_6 Depth=1
                                        ;     Parent Loop BB51_10 Depth=2
                                        ; =>    This Inner Loop Header: Depth=3
	v_add_nc_u32_e32 v18, v16, v17
	s_or_b32 s44, s44, exec_lo
	s_or_b32 s45, s45, exec_lo
	s_mov_b32 s46, exec_lo
	v_ashrrev_i32_e32 v19, 31, v18
	v_lshlrev_b64 v[29:30], 2, v[18:19]
	v_add_co_u32 v29, vcc_lo, s12, v29
	v_add_co_ci_u32_e64 v30, null, s13, v30, vcc_lo
	global_load_dword v5, v[29:30], off
	s_waitcnt vmcnt(0)
	v_subrev_nc_u32_e32 v5, s37, v5
	v_cmpx_ne_u32_e64 v5, v1
	s_cbranch_execz .LBB51_38
; %bb.40:                               ;   in Loop: Header=BB51_39 Depth=3
	v_add_nc_u32_e32 v17, 1, v17
	s_andn2_b32 s45, s45, exec_lo
	s_andn2_b32 s44, s44, exec_lo
	v_cmp_ge_i32_e32 vcc_lo, v17, v28
	s_and_b32 s47, vcc_lo, exec_lo
	s_or_b32 s45, s45, s47
	s_branch .LBB51_38
.LBB51_41:                              ;   in Loop: Header=BB51_10 Depth=2
	s_inst_prefetch 0x2
	s_or_b32 exec_lo, exec_lo, s43
	s_and_saveexec_b32 s43, s42
	s_xor_b32 s42, exec_lo, s43
	s_cbranch_execz .LBB51_43
; %bb.42:                               ;   in Loop: Header=BB51_10 Depth=2
	v_lshlrev_b64 v[16:17], 4, v[18:19]
	v_add_co_u32 v16, vcc_lo, s14, v16
	v_add_co_ci_u32_e64 v17, null, s15, v17, vcc_lo
	global_load_dwordx4 v[16:19], v[16:17], off
	s_waitcnt vmcnt(0)
	v_add_f64 v[12:13], v[12:13], v[16:17]
	v_add_f64 v[14:15], v[14:15], v[18:19]
.LBB51_43:                              ;   in Loop: Header=BB51_10 Depth=2
	s_or_b32 exec_lo, exec_lo, s42
	s_or_b32 exec_lo, exec_lo, s1
	s_mov_b32 s1, exec_lo
	v_cmpx_eq_u32_e64 v1, v10
	s_cbranch_execnz .LBB51_21
	s_branch .LBB51_22
.LBB51_44:
	s_or_b32 exec_lo, exec_lo, s38
.LBB51_45:
	s_or_b32 exec_lo, exec_lo, s33
.LBB51_46:
	s_or_b32 exec_lo, exec_lo, s6
	v_mbcnt_lo_u32_b32 v5, -1, 0
	v_xor_b32_e32 v1, 2, v5
	v_xor_b32_e32 v6, 1, v5
	v_cmp_gt_i32_e32 vcc_lo, 32, v1
	v_cmp_gt_i32_e64 s0, 32, v6
	v_cndmask_b32_e32 v1, v5, v1, vcc_lo
	v_cndmask_b32_e64 v5, v5, v6, s0
	s_mov_b32 s0, exec_lo
	v_lshlrev_b32_e32 v2, 2, v1
	v_lshlrev_b32_e32 v5, 2, v5
	ds_bpermute_b32 v1, v2, v3
	ds_bpermute_b32 v2, v2, v4
	s_waitcnt lgkmcnt(0)
	v_cmp_lt_f64_e32 vcc_lo, v[3:4], v[1:2]
	v_cndmask_b32_e32 v2, v4, v2, vcc_lo
	v_cndmask_b32_e32 v1, v3, v1, vcc_lo
	ds_bpermute_b32 v3, v5, v1
	ds_bpermute_b32 v5, v5, v2
	v_cmpx_eq_u32_e32 3, v21
	s_cbranch_execz .LBB51_48
; %bb.47:
	s_waitcnt lgkmcnt(0)
	v_mov_b32_e32 v4, v5
	v_cmp_lt_f64_e32 vcc_lo, v[1:2], v[3:4]
	v_lshlrev_b32_e32 v4, 3, v20
	v_cndmask_b32_e32 v2, v2, v5, vcc_lo
	v_cndmask_b32_e32 v1, v1, v3, vcc_lo
	ds_write_b64 v4, v[1:2]
.LBB51_48:
	s_or_b32 exec_lo, exec_lo, s0
	v_lshlrev_b32_e32 v1, 3, v0
	s_mov_b32 s0, exec_lo
	s_waitcnt lgkmcnt(0)
	s_barrier
	buffer_gl0_inv
	v_cmpx_gt_u32_e32 0x80, v0
	s_cbranch_execz .LBB51_50
; %bb.49:
	ds_read2st64_b64 v[2:5], v1 offset1:2
	s_waitcnt lgkmcnt(0)
	v_cmp_lt_f64_e32 vcc_lo, v[2:3], v[4:5]
	v_cndmask_b32_e32 v3, v3, v5, vcc_lo
	v_cndmask_b32_e32 v2, v2, v4, vcc_lo
	ds_write_b64 v1, v[2:3]
.LBB51_50:
	s_or_b32 exec_lo, exec_lo, s0
	s_mov_b32 s0, exec_lo
	s_waitcnt lgkmcnt(0)
	s_barrier
	buffer_gl0_inv
	v_cmpx_gt_u32_e32 64, v0
	s_cbranch_execz .LBB51_52
; %bb.51:
	ds_read2st64_b64 v[2:5], v1 offset1:1
	s_waitcnt lgkmcnt(0)
	v_cmp_lt_f64_e32 vcc_lo, v[2:3], v[4:5]
	v_cndmask_b32_e32 v3, v3, v5, vcc_lo
	v_cndmask_b32_e32 v2, v2, v4, vcc_lo
	ds_write_b64 v1, v[2:3]
.LBB51_52:
	s_or_b32 exec_lo, exec_lo, s0
	s_mov_b32 s0, exec_lo
	s_waitcnt lgkmcnt(0)
	s_barrier
	buffer_gl0_inv
	v_cmpx_gt_u32_e32 32, v0
	s_cbranch_execz .LBB51_54
; %bb.53:
	ds_read2_b64 v[2:5], v1 offset1:32
	s_waitcnt lgkmcnt(0)
	v_cmp_lt_f64_e32 vcc_lo, v[2:3], v[4:5]
	v_cndmask_b32_e32 v3, v3, v5, vcc_lo
	v_cndmask_b32_e32 v2, v2, v4, vcc_lo
	ds_write_b64 v1, v[2:3]
.LBB51_54:
	s_or_b32 exec_lo, exec_lo, s0
	s_mov_b32 s0, exec_lo
	s_waitcnt lgkmcnt(0)
	s_barrier
	buffer_gl0_inv
	v_cmpx_gt_u32_e32 16, v0
	s_cbranch_execz .LBB51_56
; %bb.55:
	ds_read2_b64 v[2:5], v1 offset1:16
	s_waitcnt lgkmcnt(0)
	v_cmp_lt_f64_e32 vcc_lo, v[2:3], v[4:5]
	v_cndmask_b32_e32 v3, v3, v5, vcc_lo
	v_cndmask_b32_e32 v2, v2, v4, vcc_lo
	ds_write_b64 v1, v[2:3]
.LBB51_56:
	;; [unrolled: 15-line block ×5, first 2 shown]
	s_or_b32 exec_lo, exec_lo, s0
	v_cmp_eq_u32_e32 vcc_lo, 0, v0
	s_waitcnt lgkmcnt(0)
	s_barrier
	buffer_gl0_inv
	s_and_saveexec_b32 s1, vcc_lo
	s_cbranch_execz .LBB51_64
; %bb.63:
	v_mov_b32_e32 v4, 0
	ds_read_b128 v[0:3], v4
	s_waitcnt lgkmcnt(0)
	v_cmp_lt_f64_e64 s0, v[0:1], v[2:3]
	v_cndmask_b32_e64 v1, v1, v3, s0
	v_cndmask_b32_e64 v0, v0, v2, s0
	ds_write_b64 v4, v[0:1]
.LBB51_64:
	s_or_b32 exec_lo, exec_lo, s1
	s_waitcnt lgkmcnt(0)
	s_barrier
	buffer_gl0_inv
	s_and_saveexec_b32 s0, vcc_lo
	s_cbranch_execz .LBB51_68
; %bb.65:
	v_mbcnt_lo_u32_b32 v0, exec_lo, 0
	s_mov_b32 s6, 0
	v_cmp_eq_u32_e32 vcc_lo, 0, v0
	s_and_b32 exec_lo, exec_lo, vcc_lo
	s_cbranch_execz .LBB51_68
; %bb.66:
	s_load_dwordx4 s[0:3], s[4:5], 0x88
	v_mov_b32_e32 v6, 0
	ds_read_b64 v[0:1], v6
	s_waitcnt lgkmcnt(0)
	s_load_dwordx2 s[2:3], s[2:3], 0x0
	s_waitcnt lgkmcnt(0)
	v_div_scale_f64 v[2:3], null, s[2:3], s[2:3], v[0:1]
	v_rcp_f64_e32 v[4:5], v[2:3]
	v_fma_f64 v[7:8], -v[2:3], v[4:5], 1.0
	v_fma_f64 v[4:5], v[4:5], v[7:8], v[4:5]
	v_fma_f64 v[7:8], -v[2:3], v[4:5], 1.0
	v_fma_f64 v[4:5], v[4:5], v[7:8], v[4:5]
	v_div_scale_f64 v[7:8], vcc_lo, v[0:1], s[2:3], v[0:1]
	v_mul_f64 v[9:10], v[7:8], v[4:5]
	v_fma_f64 v[2:3], -v[2:3], v[9:10], v[7:8]
	v_div_fmas_f64 v[2:3], v[2:3], v[4:5], v[9:10]
	v_div_fixup_f64 v[0:1], v[2:3], s[2:3], v[0:1]
	s_load_dwordx2 s[2:3], s[0:1], 0x0
	s_waitcnt lgkmcnt(0)
	v_mov_b32_e32 v2, s2
	v_max_f64 v[4:5], v[0:1], v[0:1]
	v_mov_b32_e32 v3, s3
.LBB51_67:                              ; =>This Inner Loop Header: Depth=1
	v_max_f64 v[0:1], v[2:3], v[2:3]
	v_max_f64 v[0:1], v[0:1], v[4:5]
	global_atomic_cmpswap_x2 v[0:1], v6, v[0:3], s[0:1] glc
	s_waitcnt vmcnt(0)
	v_cmp_eq_u64_e32 vcc_lo, v[0:1], v[2:3]
	v_mov_b32_e32 v3, v1
	v_mov_b32_e32 v2, v0
	s_or_b32 s6, vcc_lo, s6
	s_andn2_b32 exec_lo, exec_lo, s6
	s_cbranch_execnz .LBB51_67
.LBB51_68:
	s_endpgm
	.section	.rodata,"a",@progbits
	.p2align	6, 0x0
	.amdhsa_kernel _ZN9rocsparseL19kernel_nrm_residualILi1024ELi4E21rocsparse_complex_numIdEiiEEvT3_T2_PKS4_S6_PKS3_PKT1_21rocsparse_index_base_S6_S6_S8_SB_SC_S6_S6_S8_SB_SC_SB_PNS_15floating_traitsIS9_E6data_tEPKSF_
		.amdhsa_group_segment_fixed_size 2048
		.amdhsa_private_segment_fixed_size 0
		.amdhsa_kernarg_size 152
		.amdhsa_user_sgpr_count 6
		.amdhsa_user_sgpr_private_segment_buffer 1
		.amdhsa_user_sgpr_dispatch_ptr 0
		.amdhsa_user_sgpr_queue_ptr 0
		.amdhsa_user_sgpr_kernarg_segment_ptr 1
		.amdhsa_user_sgpr_dispatch_id 0
		.amdhsa_user_sgpr_flat_scratch_init 0
		.amdhsa_user_sgpr_private_segment_size 0
		.amdhsa_wavefront_size32 1
		.amdhsa_uses_dynamic_stack 0
		.amdhsa_system_sgpr_private_segment_wavefront_offset 0
		.amdhsa_system_sgpr_workgroup_id_x 1
		.amdhsa_system_sgpr_workgroup_id_y 0
		.amdhsa_system_sgpr_workgroup_id_z 0
		.amdhsa_system_sgpr_workgroup_info 0
		.amdhsa_system_vgpr_workitem_id 0
		.amdhsa_next_free_vgpr 42
		.amdhsa_next_free_sgpr 49
		.amdhsa_reserve_vcc 1
		.amdhsa_reserve_flat_scratch 0
		.amdhsa_float_round_mode_32 0
		.amdhsa_float_round_mode_16_64 0
		.amdhsa_float_denorm_mode_32 3
		.amdhsa_float_denorm_mode_16_64 3
		.amdhsa_dx10_clamp 1
		.amdhsa_ieee_mode 1
		.amdhsa_fp16_overflow 0
		.amdhsa_workgroup_processor_mode 1
		.amdhsa_memory_ordered 1
		.amdhsa_forward_progress 1
		.amdhsa_shared_vgpr_count 0
		.amdhsa_exception_fp_ieee_invalid_op 0
		.amdhsa_exception_fp_denorm_src 0
		.amdhsa_exception_fp_ieee_div_zero 0
		.amdhsa_exception_fp_ieee_overflow 0
		.amdhsa_exception_fp_ieee_underflow 0
		.amdhsa_exception_fp_ieee_inexact 0
		.amdhsa_exception_int_div_zero 0
	.end_amdhsa_kernel
	.section	.text._ZN9rocsparseL19kernel_nrm_residualILi1024ELi4E21rocsparse_complex_numIdEiiEEvT3_T2_PKS4_S6_PKS3_PKT1_21rocsparse_index_base_S6_S6_S8_SB_SC_S6_S6_S8_SB_SC_SB_PNS_15floating_traitsIS9_E6data_tEPKSF_,"axG",@progbits,_ZN9rocsparseL19kernel_nrm_residualILi1024ELi4E21rocsparse_complex_numIdEiiEEvT3_T2_PKS4_S6_PKS3_PKT1_21rocsparse_index_base_S6_S6_S8_SB_SC_S6_S6_S8_SB_SC_SB_PNS_15floating_traitsIS9_E6data_tEPKSF_,comdat
.Lfunc_end51:
	.size	_ZN9rocsparseL19kernel_nrm_residualILi1024ELi4E21rocsparse_complex_numIdEiiEEvT3_T2_PKS4_S6_PKS3_PKT1_21rocsparse_index_base_S6_S6_S8_SB_SC_S6_S6_S8_SB_SC_SB_PNS_15floating_traitsIS9_E6data_tEPKSF_, .Lfunc_end51-_ZN9rocsparseL19kernel_nrm_residualILi1024ELi4E21rocsparse_complex_numIdEiiEEvT3_T2_PKS4_S6_PKS3_PKT1_21rocsparse_index_base_S6_S6_S8_SB_SC_S6_S6_S8_SB_SC_SB_PNS_15floating_traitsIS9_E6data_tEPKSF_
                                        ; -- End function
	.set _ZN9rocsparseL19kernel_nrm_residualILi1024ELi4E21rocsparse_complex_numIdEiiEEvT3_T2_PKS4_S6_PKS3_PKT1_21rocsparse_index_base_S6_S6_S8_SB_SC_S6_S6_S8_SB_SC_SB_PNS_15floating_traitsIS9_E6data_tEPKSF_.num_vgpr, 42
	.set _ZN9rocsparseL19kernel_nrm_residualILi1024ELi4E21rocsparse_complex_numIdEiiEEvT3_T2_PKS4_S6_PKS3_PKT1_21rocsparse_index_base_S6_S6_S8_SB_SC_S6_S6_S8_SB_SC_SB_PNS_15floating_traitsIS9_E6data_tEPKSF_.num_agpr, 0
	.set _ZN9rocsparseL19kernel_nrm_residualILi1024ELi4E21rocsparse_complex_numIdEiiEEvT3_T2_PKS4_S6_PKS3_PKT1_21rocsparse_index_base_S6_S6_S8_SB_SC_S6_S6_S8_SB_SC_SB_PNS_15floating_traitsIS9_E6data_tEPKSF_.numbered_sgpr, 49
	.set _ZN9rocsparseL19kernel_nrm_residualILi1024ELi4E21rocsparse_complex_numIdEiiEEvT3_T2_PKS4_S6_PKS3_PKT1_21rocsparse_index_base_S6_S6_S8_SB_SC_S6_S6_S8_SB_SC_SB_PNS_15floating_traitsIS9_E6data_tEPKSF_.num_named_barrier, 0
	.set _ZN9rocsparseL19kernel_nrm_residualILi1024ELi4E21rocsparse_complex_numIdEiiEEvT3_T2_PKS4_S6_PKS3_PKT1_21rocsparse_index_base_S6_S6_S8_SB_SC_S6_S6_S8_SB_SC_SB_PNS_15floating_traitsIS9_E6data_tEPKSF_.private_seg_size, 0
	.set _ZN9rocsparseL19kernel_nrm_residualILi1024ELi4E21rocsparse_complex_numIdEiiEEvT3_T2_PKS4_S6_PKS3_PKT1_21rocsparse_index_base_S6_S6_S8_SB_SC_S6_S6_S8_SB_SC_SB_PNS_15floating_traitsIS9_E6data_tEPKSF_.uses_vcc, 1
	.set _ZN9rocsparseL19kernel_nrm_residualILi1024ELi4E21rocsparse_complex_numIdEiiEEvT3_T2_PKS4_S6_PKS3_PKT1_21rocsparse_index_base_S6_S6_S8_SB_SC_S6_S6_S8_SB_SC_SB_PNS_15floating_traitsIS9_E6data_tEPKSF_.uses_flat_scratch, 0
	.set _ZN9rocsparseL19kernel_nrm_residualILi1024ELi4E21rocsparse_complex_numIdEiiEEvT3_T2_PKS4_S6_PKS3_PKT1_21rocsparse_index_base_S6_S6_S8_SB_SC_S6_S6_S8_SB_SC_SB_PNS_15floating_traitsIS9_E6data_tEPKSF_.has_dyn_sized_stack, 0
	.set _ZN9rocsparseL19kernel_nrm_residualILi1024ELi4E21rocsparse_complex_numIdEiiEEvT3_T2_PKS4_S6_PKS3_PKT1_21rocsparse_index_base_S6_S6_S8_SB_SC_S6_S6_S8_SB_SC_SB_PNS_15floating_traitsIS9_E6data_tEPKSF_.has_recursion, 0
	.set _ZN9rocsparseL19kernel_nrm_residualILi1024ELi4E21rocsparse_complex_numIdEiiEEvT3_T2_PKS4_S6_PKS3_PKT1_21rocsparse_index_base_S6_S6_S8_SB_SC_S6_S6_S8_SB_SC_SB_PNS_15floating_traitsIS9_E6data_tEPKSF_.has_indirect_call, 0
	.section	.AMDGPU.csdata,"",@progbits
; Kernel info:
; codeLenInByte = 3352
; TotalNumSgprs: 51
; NumVgprs: 42
; ScratchSize: 0
; MemoryBound: 1
; FloatMode: 240
; IeeeMode: 1
; LDSByteSize: 2048 bytes/workgroup (compile time only)
; SGPRBlocks: 0
; VGPRBlocks: 5
; NumSGPRsForWavesPerEU: 51
; NumVGPRsForWavesPerEU: 42
; Occupancy: 16
; WaveLimiterHint : 1
; COMPUTE_PGM_RSRC2:SCRATCH_EN: 0
; COMPUTE_PGM_RSRC2:USER_SGPR: 6
; COMPUTE_PGM_RSRC2:TRAP_HANDLER: 0
; COMPUTE_PGM_RSRC2:TGID_X_EN: 1
; COMPUTE_PGM_RSRC2:TGID_Y_EN: 0
; COMPUTE_PGM_RSRC2:TGID_Z_EN: 0
; COMPUTE_PGM_RSRC2:TIDIG_COMP_CNT: 0
	.section	.text._ZN9rocsparseL19kernel_nrm_residualILi1024ELi8E21rocsparse_complex_numIdEiiEEvT3_T2_PKS4_S6_PKS3_PKT1_21rocsparse_index_base_S6_S6_S8_SB_SC_S6_S6_S8_SB_SC_SB_PNS_15floating_traitsIS9_E6data_tEPKSF_,"axG",@progbits,_ZN9rocsparseL19kernel_nrm_residualILi1024ELi8E21rocsparse_complex_numIdEiiEEvT3_T2_PKS4_S6_PKS3_PKT1_21rocsparse_index_base_S6_S6_S8_SB_SC_S6_S6_S8_SB_SC_SB_PNS_15floating_traitsIS9_E6data_tEPKSF_,comdat
	.globl	_ZN9rocsparseL19kernel_nrm_residualILi1024ELi8E21rocsparse_complex_numIdEiiEEvT3_T2_PKS4_S6_PKS3_PKT1_21rocsparse_index_base_S6_S6_S8_SB_SC_S6_S6_S8_SB_SC_SB_PNS_15floating_traitsIS9_E6data_tEPKSF_ ; -- Begin function _ZN9rocsparseL19kernel_nrm_residualILi1024ELi8E21rocsparse_complex_numIdEiiEEvT3_T2_PKS4_S6_PKS3_PKT1_21rocsparse_index_base_S6_S6_S8_SB_SC_S6_S6_S8_SB_SC_SB_PNS_15floating_traitsIS9_E6data_tEPKSF_
	.p2align	8
	.type	_ZN9rocsparseL19kernel_nrm_residualILi1024ELi8E21rocsparse_complex_numIdEiiEEvT3_T2_PKS4_S6_PKS3_PKT1_21rocsparse_index_base_S6_S6_S8_SB_SC_S6_S6_S8_SB_SC_SB_PNS_15floating_traitsIS9_E6data_tEPKSF_,@function
_ZN9rocsparseL19kernel_nrm_residualILi1024ELi8E21rocsparse_complex_numIdEiiEEvT3_T2_PKS4_S6_PKS3_PKT1_21rocsparse_index_base_S6_S6_S8_SB_SC_S6_S6_S8_SB_SC_SB_PNS_15floating_traitsIS9_E6data_tEPKSF_: ; @_ZN9rocsparseL19kernel_nrm_residualILi1024ELi8E21rocsparse_complex_numIdEiiEEvT3_T2_PKS4_S6_PKS3_PKT1_21rocsparse_index_base_S6_S6_S8_SB_SC_S6_S6_S8_SB_SC_SB_PNS_15floating_traitsIS9_E6data_tEPKSF_
; %bb.0:
	s_load_dword s7, s[4:5], 0x0
	v_lshrrev_b32_e32 v20, 3, v0
	s_lshl_b32 s34, s6, 10
	v_mov_b32_e32 v3, 0
	v_and_b32_e32 v21, 7, v0
	v_mov_b32_e32 v4, 0
	v_or_b32_e32 v1, s34, v20
	s_mov_b32 s6, exec_lo
	s_waitcnt lgkmcnt(0)
	v_cmpx_gt_i32_e64 s7, v1
	s_cbranch_execz .LBB52_46
; %bb.1:
	v_mov_b32_e32 v3, 0
	v_mov_b32_e32 v4, 0
	s_addk_i32 s34, 0x400
	s_mov_b32 s33, exec_lo
	v_cmpx_gt_u32_e64 s34, v1
	s_cbranch_execz .LBB52_45
; %bb.2:
	s_clause 0x6
	s_load_dword s35, s[4:5], 0x28
	s_load_dwordx8 s[8:15], s[4:5], 0x58
	s_load_dwordx8 s[16:23], s[4:5], 0x30
	;; [unrolled: 1-line block ×3, first 2 shown]
	s_load_dword s36, s[4:5], 0x50
	s_load_dwordx2 s[2:3], s[4:5], 0x80
	s_load_dword s37, s[4:5], 0x78
	v_mov_b32_e32 v3, 0
	v_mov_b32_e32 v4, 0
	;; [unrolled: 1-line block ×3, first 2 shown]
	s_mov_b32 s38, 0
	s_waitcnt lgkmcnt(0)
	v_subrev_nc_u32_e32 v22, s35, v21
	s_branch .LBB52_6
.LBB52_3:                               ;   in Loop: Header=BB52_6 Depth=1
	s_or_b32 exec_lo, exec_lo, s41
.LBB52_4:                               ;   in Loop: Header=BB52_6 Depth=1
	s_or_b32 exec_lo, exec_lo, s40
.LBB52_5:                               ;   in Loop: Header=BB52_6 Depth=1
	s_or_b32 exec_lo, exec_lo, s39
	v_add_nc_u32_e32 v1, 0x80, v1
	v_cmp_le_u32_e32 vcc_lo, s34, v1
	s_or_b32 s38, vcc_lo, s38
	s_andn2_b32 exec_lo, exec_lo, s38
	s_cbranch_execz .LBB52_44
.LBB52_6:                               ; =>This Loop Header: Depth=1
                                        ;     Child Loop BB52_10 Depth 2
                                        ;       Child Loop BB52_14 Depth 3
                                        ;       Child Loop BB52_31 Depth 3
	;; [unrolled: 1-line block ×3, first 2 shown]
	s_mov_b32 s39, exec_lo
	v_cmpx_gt_i32_e64 s7, v1
	s_cbranch_execz .LBB52_5
; %bb.7:                                ;   in Loop: Header=BB52_6 Depth=1
	v_ashrrev_i32_e32 v2, 31, v1
	s_mov_b32 s40, exec_lo
	v_lshlrev_b64 v[8:9], 2, v[1:2]
	v_add_co_u32 v10, vcc_lo, s24, v8
	v_add_co_ci_u32_e64 v11, null, s25, v9, vcc_lo
	v_add_co_u32 v12, vcc_lo, s26, v8
	v_add_co_ci_u32_e64 v13, null, s27, v9, vcc_lo
	global_load_dword v2, v[10:11], off
	global_load_dword v5, v[12:13], off
	s_waitcnt vmcnt(1)
	v_add_nc_u32_e32 v7, v22, v2
	s_waitcnt vmcnt(0)
	v_subrev_nc_u32_e32 v2, s35, v5
	v_cmpx_lt_i32_e64 v7, v2
	s_cbranch_execz .LBB52_4
; %bb.8:                                ;   in Loop: Header=BB52_6 Depth=1
	v_add_co_u32 v10, vcc_lo, s16, v8
	v_add_co_ci_u32_e64 v11, null, s17, v9, vcc_lo
	v_add_co_u32 v8, vcc_lo, s18, v8
	v_add_co_ci_u32_e64 v9, null, s19, v9, vcc_lo
	global_load_dword v5, v[10:11], off
	s_mov_b32 s41, 0
	global_load_dword v8, v[8:9], off
	s_waitcnt vmcnt(1)
	v_subrev_nc_u32_e32 v9, s36, v5
	s_waitcnt vmcnt(0)
	v_sub_nc_u32_e32 v23, v8, v5
	v_ashrrev_i32_e32 v10, 31, v9
	v_cmp_lt_i32_e64 s0, 0, v23
	v_lshlrev_b64 v[11:12], 2, v[9:10]
	v_lshlrev_b64 v[13:14], 4, v[9:10]
	v_add_co_u32 v24, vcc_lo, s20, v11
	v_add_co_ci_u32_e64 v25, null, s21, v12, vcc_lo
	v_add_co_u32 v26, vcc_lo, s22, v13
	v_add_co_ci_u32_e64 v27, null, s23, v14, vcc_lo
	s_branch .LBB52_10
.LBB52_9:                               ;   in Loop: Header=BB52_10 Depth=2
	s_or_b32 exec_lo, exec_lo, s1
	v_cmp_nlg_f64_e64 s42, 0x7ff00000, |v[14:15]|
	v_cmp_gt_f64_e32 vcc_lo, v[3:4], v[14:15]
	v_add_nc_u32_e32 v7, 8, v7
	v_cmp_ge_i32_e64 s1, v7, v2
	s_or_b32 vcc_lo, s42, vcc_lo
	s_or_b32 s41, s1, s41
	v_cndmask_b32_e32 v4, v15, v4, vcc_lo
	v_cndmask_b32_e32 v3, v14, v3, vcc_lo
	s_andn2_b32 exec_lo, exec_lo, s41
	s_cbranch_execz .LBB52_3
.LBB52_10:                              ;   Parent Loop BB52_6 Depth=1
                                        ; =>  This Loop Header: Depth=2
                                        ;       Child Loop BB52_14 Depth 3
                                        ;       Child Loop BB52_31 Depth 3
	;; [unrolled: 1-line block ×3, first 2 shown]
	v_ashrrev_i32_e32 v8, 31, v7
	v_lshlrev_b64 v[10:11], 2, v[7:8]
	v_add_co_u32 v10, vcc_lo, s28, v10
	v_add_co_ci_u32_e64 v11, null, s29, v11, vcc_lo
	global_load_dword v5, v[10:11], off
	s_waitcnt vmcnt(0)
	v_subrev_nc_u32_e32 v10, s35, v5
	v_mov_b32_e32 v5, 0
	v_ashrrev_i32_e32 v11, 31, v10
	v_lshlrev_b64 v[12:13], 2, v[10:11]
	v_add_co_u32 v14, vcc_lo, s8, v12
	v_add_co_ci_u32_e64 v15, null, s9, v13, vcc_lo
	v_add_co_u32 v12, vcc_lo, s10, v12
	v_add_co_ci_u32_e64 v13, null, s11, v13, vcc_lo
	global_load_dword v17, v[14:15], off
	global_load_dword v18, v[12:13], off
	v_mov_b32_e32 v12, 0
	v_mov_b32_e32 v14, 0
	;; [unrolled: 1-line block ×4, first 2 shown]
	s_waitcnt vmcnt(1)
	v_subrev_nc_u32_e32 v16, s37, v17
	s_waitcnt vmcnt(0)
	v_sub_nc_u32_e32 v28, v18, v17
	v_mov_b32_e32 v17, v5
	s_and_saveexec_b32 s42, s0
	s_cbranch_execz .LBB52_18
; %bb.11:                               ;   in Loop: Header=BB52_10 Depth=2
	v_ashrrev_i32_e32 v17, 31, v16
	v_mov_b32_e32 v12, 0
	v_mov_b32_e32 v13, 0
	;; [unrolled: 1-line block ×3, first 2 shown]
	s_mov_b32 s43, 0
	v_lshlrev_b64 v[14:15], 2, v[16:17]
	v_lshlrev_b64 v[17:18], 4, v[16:17]
                                        ; implicit-def: $sgpr44
	v_add_co_u32 v19, vcc_lo, s12, v14
	v_add_co_ci_u32_e64 v29, null, s13, v15, vcc_lo
	v_add_co_u32 v30, vcc_lo, s14, v17
	v_mov_b32_e32 v14, 0
	v_add_co_ci_u32_e64 v31, null, s15, v18, vcc_lo
	v_mov_b32_e32 v17, 0
	v_mov_b32_e32 v15, 0
	s_branch .LBB52_14
.LBB52_12:                              ;   in Loop: Header=BB52_14 Depth=3
	s_or_b32 exec_lo, exec_lo, s1
	v_cmp_le_i32_e32 vcc_lo, v32, v33
	v_cmp_ge_i32_e64 s1, v32, v33
	v_add_co_ci_u32_e64 v5, null, 0, v5, vcc_lo
	v_add_co_ci_u32_e64 v17, null, 0, v17, s1
	s_andn2_b32 s1, s44, exec_lo
	v_cmp_ge_i32_e32 vcc_lo, v5, v23
	s_and_b32 s44, vcc_lo, exec_lo
	s_or_b32 s44, s1, s44
.LBB52_13:                              ;   in Loop: Header=BB52_14 Depth=3
	s_or_b32 exec_lo, exec_lo, s45
	s_and_b32 s1, exec_lo, s44
	s_or_b32 s43, s1, s43
	s_andn2_b32 exec_lo, exec_lo, s43
	s_cbranch_execz .LBB52_17
.LBB52_14:                              ;   Parent Loop BB52_6 Depth=1
                                        ;     Parent Loop BB52_10 Depth=2
                                        ; =>    This Inner Loop Header: Depth=3
	s_or_b32 s44, s44, exec_lo
	s_mov_b32 s45, exec_lo
	v_cmpx_lt_i32_e64 v17, v28
	s_cbranch_execz .LBB52_13
; %bb.15:                               ;   in Loop: Header=BB52_14 Depth=3
	v_mov_b32_e32 v18, v6
	v_lshlrev_b64 v[32:33], 2, v[5:6]
	s_mov_b32 s1, exec_lo
	v_lshlrev_b64 v[34:35], 2, v[17:18]
	v_add_co_u32 v32, vcc_lo, v24, v32
	v_add_co_ci_u32_e64 v33, null, v25, v33, vcc_lo
	v_add_co_u32 v34, vcc_lo, v19, v34
	v_add_co_ci_u32_e64 v35, null, v29, v35, vcc_lo
	global_load_dword v32, v[32:33], off
	global_load_dword v33, v[34:35], off
	s_waitcnt vmcnt(1)
	v_subrev_nc_u32_e32 v32, s36, v32
	s_waitcnt vmcnt(0)
	v_subrev_nc_u32_e32 v33, s37, v33
	v_cmpx_eq_u32_e64 v32, v33
	s_cbranch_execz .LBB52_12
; %bb.16:                               ;   in Loop: Header=BB52_14 Depth=3
	v_lshlrev_b64 v[34:35], 4, v[5:6]
	v_lshlrev_b64 v[36:37], 4, v[17:18]
	v_add_co_u32 v34, vcc_lo, v26, v34
	v_add_co_ci_u32_e64 v35, null, v27, v35, vcc_lo
	v_add_co_u32 v38, vcc_lo, v30, v36
	v_add_co_ci_u32_e64 v39, null, v31, v37, vcc_lo
	global_load_dwordx4 v[34:37], v[34:35], off
	global_load_dwordx4 v[38:41], v[38:39], off
	s_waitcnt vmcnt(0)
	v_fma_f64 v[12:13], v[34:35], v[38:39], v[12:13]
	v_fma_f64 v[14:15], v[36:37], v[38:39], v[14:15]
	v_fma_f64 v[12:13], -v[36:37], v[40:41], v[12:13]
	v_fma_f64 v[14:15], v[34:35], v[40:41], v[14:15]
	s_branch .LBB52_12
.LBB52_17:                              ;   in Loop: Header=BB52_10 Depth=2
	s_or_b32 exec_lo, exec_lo, s43
.LBB52_18:                              ;   in Loop: Header=BB52_10 Depth=2
	s_or_b32 exec_lo, exec_lo, s42
	s_mov_b32 s1, exec_lo
	v_cmpx_ge_i32_e64 v17, v28
	s_xor_b32 s1, exec_lo, s1
	s_cbranch_execnz .LBB52_28
; %bb.19:                               ;   in Loop: Header=BB52_10 Depth=2
	s_andn2_saveexec_b32 s1, s1
	s_cbranch_execnz .LBB52_37
.LBB52_20:                              ;   in Loop: Header=BB52_10 Depth=2
	s_or_b32 exec_lo, exec_lo, s1
	s_mov_b32 s1, exec_lo
	v_cmpx_eq_u32_e64 v1, v10
	s_cbranch_execz .LBB52_22
.LBB52_21:                              ;   in Loop: Header=BB52_10 Depth=2
	v_lshlrev_b64 v[10:11], 4, v[10:11]
	v_add_co_u32 v10, vcc_lo, s2, v10
	v_add_co_ci_u32_e64 v11, null, s3, v11, vcc_lo
	global_load_dwordx4 v[16:19], v[10:11], off
	s_waitcnt vmcnt(0)
	v_add_f64 v[12:13], v[12:13], v[16:17]
	v_add_f64 v[14:15], v[14:15], v[18:19]
.LBB52_22:                              ;   in Loop: Header=BB52_10 Depth=2
	s_or_b32 exec_lo, exec_lo, s1
	v_lshlrev_b64 v[10:11], 4, v[7:8]
	s_mov_b32 s1, exec_lo
	v_add_co_u32 v10, vcc_lo, s30, v10
	v_add_co_ci_u32_e64 v11, null, s31, v11, vcc_lo
	global_load_dwordx4 v[16:19], v[10:11], off
	s_waitcnt vmcnt(0)
	v_add_f64 v[10:11], v[16:17], -v[12:13]
	v_add_f64 v[16:17], v[18:19], -v[14:15]
                                        ; implicit-def: $vgpr14_vgpr15
	v_cmp_gt_f64_e32 vcc_lo, 0, v[10:11]
	v_xor_b32_e32 v5, 0x80000000, v11
	v_xor_b32_e32 v8, 0x80000000, v17
	v_mov_b32_e32 v12, v16
	v_cndmask_b32_e32 v11, v11, v5, vcc_lo
	v_cmp_gt_f64_e32 vcc_lo, 0, v[16:17]
	v_cndmask_b32_e32 v13, v17, v8, vcc_lo
	v_cmpx_ngt_f64_e32 v[10:11], v[12:13]
	s_xor_b32 s1, exec_lo, s1
	s_cbranch_execz .LBB52_26
; %bb.23:                               ;   in Loop: Header=BB52_10 Depth=2
	v_mov_b32_e32 v14, 0
	v_mov_b32_e32 v15, 0
	s_mov_b32 s42, exec_lo
	v_cmpx_neq_f64_e32 0, v[16:17]
	s_cbranch_execz .LBB52_25
; %bb.24:                               ;   in Loop: Header=BB52_10 Depth=2
	v_div_scale_f64 v[14:15], null, v[12:13], v[12:13], v[10:11]
	v_div_scale_f64 v[28:29], vcc_lo, v[10:11], v[12:13], v[10:11]
	v_rcp_f64_e32 v[16:17], v[14:15]
	v_fma_f64 v[18:19], -v[14:15], v[16:17], 1.0
	v_fma_f64 v[16:17], v[16:17], v[18:19], v[16:17]
	v_fma_f64 v[18:19], -v[14:15], v[16:17], 1.0
	v_fma_f64 v[16:17], v[16:17], v[18:19], v[16:17]
	v_mul_f64 v[18:19], v[28:29], v[16:17]
	v_fma_f64 v[14:15], -v[14:15], v[18:19], v[28:29]
	v_div_fmas_f64 v[14:15], v[14:15], v[16:17], v[18:19]
	v_div_fixup_f64 v[10:11], v[14:15], v[12:13], v[10:11]
	v_fma_f64 v[10:11], v[10:11], v[10:11], 1.0
	v_cmp_gt_f64_e32 vcc_lo, 0x10000000, v[10:11]
	v_cndmask_b32_e64 v5, 0, 0x100, vcc_lo
	v_ldexp_f64 v[10:11], v[10:11], v5
	v_cndmask_b32_e64 v5, 0, 0xffffff80, vcc_lo
	v_rsq_f64_e32 v[14:15], v[10:11]
	v_cmp_class_f64_e64 vcc_lo, v[10:11], 0x260
	v_mul_f64 v[16:17], v[10:11], v[14:15]
	v_mul_f64 v[14:15], v[14:15], 0.5
	v_fma_f64 v[18:19], -v[14:15], v[16:17], 0.5
	v_fma_f64 v[16:17], v[16:17], v[18:19], v[16:17]
	v_fma_f64 v[14:15], v[14:15], v[18:19], v[14:15]
	v_fma_f64 v[18:19], -v[16:17], v[16:17], v[10:11]
	v_fma_f64 v[16:17], v[18:19], v[14:15], v[16:17]
	v_fma_f64 v[18:19], -v[16:17], v[16:17], v[10:11]
	v_fma_f64 v[14:15], v[18:19], v[14:15], v[16:17]
	v_ldexp_f64 v[14:15], v[14:15], v5
	v_cndmask_b32_e32 v11, v15, v11, vcc_lo
	v_cndmask_b32_e32 v10, v14, v10, vcc_lo
	v_mul_f64 v[14:15], v[12:13], v[10:11]
.LBB52_25:                              ;   in Loop: Header=BB52_10 Depth=2
	s_or_b32 exec_lo, exec_lo, s42
                                        ; implicit-def: $vgpr10_vgpr11
                                        ; implicit-def: $vgpr12_vgpr13
.LBB52_26:                              ;   in Loop: Header=BB52_10 Depth=2
	s_andn2_saveexec_b32 s1, s1
	s_cbranch_execz .LBB52_9
; %bb.27:                               ;   in Loop: Header=BB52_10 Depth=2
	v_div_scale_f64 v[14:15], null, v[10:11], v[10:11], v[12:13]
	v_div_scale_f64 v[28:29], vcc_lo, v[12:13], v[10:11], v[12:13]
	v_rcp_f64_e32 v[16:17], v[14:15]
	v_fma_f64 v[18:19], -v[14:15], v[16:17], 1.0
	v_fma_f64 v[16:17], v[16:17], v[18:19], v[16:17]
	v_fma_f64 v[18:19], -v[14:15], v[16:17], 1.0
	v_fma_f64 v[16:17], v[16:17], v[18:19], v[16:17]
	v_mul_f64 v[18:19], v[28:29], v[16:17]
	v_fma_f64 v[14:15], -v[14:15], v[18:19], v[28:29]
	v_div_fmas_f64 v[14:15], v[14:15], v[16:17], v[18:19]
	v_div_fixup_f64 v[12:13], v[14:15], v[10:11], v[12:13]
	v_fma_f64 v[12:13], v[12:13], v[12:13], 1.0
	v_cmp_gt_f64_e32 vcc_lo, 0x10000000, v[12:13]
	v_cndmask_b32_e64 v5, 0, 0x100, vcc_lo
	v_ldexp_f64 v[12:13], v[12:13], v5
	v_cndmask_b32_e64 v5, 0, 0xffffff80, vcc_lo
	v_rsq_f64_e32 v[14:15], v[12:13]
	v_cmp_class_f64_e64 vcc_lo, v[12:13], 0x260
	v_mul_f64 v[16:17], v[12:13], v[14:15]
	v_mul_f64 v[14:15], v[14:15], 0.5
	v_fma_f64 v[18:19], -v[14:15], v[16:17], 0.5
	v_fma_f64 v[16:17], v[16:17], v[18:19], v[16:17]
	v_fma_f64 v[14:15], v[14:15], v[18:19], v[14:15]
	v_fma_f64 v[18:19], -v[16:17], v[16:17], v[12:13]
	v_fma_f64 v[16:17], v[18:19], v[14:15], v[16:17]
	v_fma_f64 v[18:19], -v[16:17], v[16:17], v[12:13]
	v_fma_f64 v[14:15], v[18:19], v[14:15], v[16:17]
	v_ldexp_f64 v[14:15], v[14:15], v5
	v_cndmask_b32_e32 v13, v15, v13, vcc_lo
	v_cndmask_b32_e32 v12, v14, v12, vcc_lo
	v_mul_f64 v[14:15], v[10:11], v[12:13]
	s_branch .LBB52_9
.LBB52_28:                              ;   in Loop: Header=BB52_10 Depth=2
	s_mov_b32 s42, exec_lo
	v_cmpx_lt_i32_e64 v5, v23
	s_cbranch_execz .LBB52_36
; %bb.29:                               ;   in Loop: Header=BB52_10 Depth=2
	s_mov_b32 s44, 0
                                        ; implicit-def: $sgpr43
                                        ; implicit-def: $sgpr46
                                        ; implicit-def: $sgpr45
	s_inst_prefetch 0x1
	s_branch .LBB52_31
	.p2align	6
.LBB52_30:                              ;   in Loop: Header=BB52_31 Depth=3
	s_or_b32 exec_lo, exec_lo, s47
	s_and_b32 s47, exec_lo, s46
	s_or_b32 s44, s47, s44
	s_andn2_b32 s43, s43, exec_lo
	s_and_b32 s47, s45, exec_lo
	s_or_b32 s43, s43, s47
	s_andn2_b32 exec_lo, exec_lo, s44
	s_cbranch_execz .LBB52_33
.LBB52_31:                              ;   Parent Loop BB52_6 Depth=1
                                        ;     Parent Loop BB52_10 Depth=2
                                        ; =>    This Inner Loop Header: Depth=3
	v_add_nc_u32_e32 v16, v9, v5
	s_or_b32 s45, s45, exec_lo
	s_or_b32 s46, s46, exec_lo
	s_mov_b32 s47, exec_lo
	v_ashrrev_i32_e32 v17, 31, v16
	v_lshlrev_b64 v[18:19], 2, v[16:17]
	v_add_co_u32 v18, vcc_lo, s20, v18
	v_add_co_ci_u32_e64 v19, null, s21, v19, vcc_lo
	global_load_dword v18, v[18:19], off
	s_waitcnt vmcnt(0)
	v_subrev_nc_u32_e32 v18, s36, v18
	v_cmpx_ne_u32_e64 v18, v10
	s_cbranch_execz .LBB52_30
; %bb.32:                               ;   in Loop: Header=BB52_31 Depth=3
	v_add_nc_u32_e32 v5, 1, v5
	s_andn2_b32 s46, s46, exec_lo
	s_andn2_b32 s45, s45, exec_lo
	v_cmp_ge_i32_e32 vcc_lo, v5, v23
	s_and_b32 s48, vcc_lo, exec_lo
	s_or_b32 s46, s46, s48
	s_branch .LBB52_30
.LBB52_33:                              ;   in Loop: Header=BB52_10 Depth=2
	s_inst_prefetch 0x2
	s_or_b32 exec_lo, exec_lo, s44
	s_and_saveexec_b32 s44, s43
	s_xor_b32 s43, exec_lo, s44
	s_cbranch_execz .LBB52_35
; %bb.34:                               ;   in Loop: Header=BB52_10 Depth=2
	v_lshlrev_b64 v[18:19], 4, v[10:11]
	v_lshlrev_b64 v[16:17], 4, v[16:17]
	v_add_co_u32 v18, vcc_lo, s2, v18
	v_add_co_ci_u32_e64 v19, null, s3, v19, vcc_lo
	v_add_co_u32 v28, vcc_lo, s22, v16
	v_add_co_ci_u32_e64 v29, null, s23, v17, vcc_lo
	global_load_dwordx4 v[16:19], v[18:19], off
	global_load_dwordx4 v[28:31], v[28:29], off
	s_waitcnt vmcnt(0)
	v_mul_f64 v[32:33], v[18:19], -v[30:31]
	v_mul_f64 v[18:19], v[18:19], v[28:29]
	v_fma_f64 v[28:29], v[28:29], v[16:17], v[32:33]
	v_fma_f64 v[16:17], v[30:31], v[16:17], v[18:19]
	v_add_f64 v[12:13], v[12:13], v[28:29]
	v_add_f64 v[14:15], v[14:15], v[16:17]
.LBB52_35:                              ;   in Loop: Header=BB52_10 Depth=2
	s_or_b32 exec_lo, exec_lo, s43
.LBB52_36:                              ;   in Loop: Header=BB52_10 Depth=2
	s_or_b32 exec_lo, exec_lo, s42
                                        ; implicit-def: $vgpr17
                                        ; implicit-def: $vgpr16
                                        ; implicit-def: $vgpr28
	s_andn2_saveexec_b32 s1, s1
	s_cbranch_execz .LBB52_20
.LBB52_37:                              ;   in Loop: Header=BB52_10 Depth=2
	s_mov_b32 s43, 0
                                        ; implicit-def: $sgpr42
                                        ; implicit-def: $sgpr45
                                        ; implicit-def: $sgpr44
	s_inst_prefetch 0x1
	s_branch .LBB52_39
	.p2align	6
.LBB52_38:                              ;   in Loop: Header=BB52_39 Depth=3
	s_or_b32 exec_lo, exec_lo, s46
	s_and_b32 s46, exec_lo, s45
	s_or_b32 s43, s46, s43
	s_andn2_b32 s42, s42, exec_lo
	s_and_b32 s46, s44, exec_lo
	s_or_b32 s42, s42, s46
	s_andn2_b32 exec_lo, exec_lo, s43
	s_cbranch_execz .LBB52_41
.LBB52_39:                              ;   Parent Loop BB52_6 Depth=1
                                        ;     Parent Loop BB52_10 Depth=2
                                        ; =>    This Inner Loop Header: Depth=3
	v_add_nc_u32_e32 v18, v16, v17
	s_or_b32 s44, s44, exec_lo
	s_or_b32 s45, s45, exec_lo
	s_mov_b32 s46, exec_lo
	v_ashrrev_i32_e32 v19, 31, v18
	v_lshlrev_b64 v[29:30], 2, v[18:19]
	v_add_co_u32 v29, vcc_lo, s12, v29
	v_add_co_ci_u32_e64 v30, null, s13, v30, vcc_lo
	global_load_dword v5, v[29:30], off
	s_waitcnt vmcnt(0)
	v_subrev_nc_u32_e32 v5, s37, v5
	v_cmpx_ne_u32_e64 v5, v1
	s_cbranch_execz .LBB52_38
; %bb.40:                               ;   in Loop: Header=BB52_39 Depth=3
	v_add_nc_u32_e32 v17, 1, v17
	s_andn2_b32 s45, s45, exec_lo
	s_andn2_b32 s44, s44, exec_lo
	v_cmp_ge_i32_e32 vcc_lo, v17, v28
	s_and_b32 s47, vcc_lo, exec_lo
	s_or_b32 s45, s45, s47
	s_branch .LBB52_38
.LBB52_41:                              ;   in Loop: Header=BB52_10 Depth=2
	s_inst_prefetch 0x2
	s_or_b32 exec_lo, exec_lo, s43
	s_and_saveexec_b32 s43, s42
	s_xor_b32 s42, exec_lo, s43
	s_cbranch_execz .LBB52_43
; %bb.42:                               ;   in Loop: Header=BB52_10 Depth=2
	v_lshlrev_b64 v[16:17], 4, v[18:19]
	v_add_co_u32 v16, vcc_lo, s14, v16
	v_add_co_ci_u32_e64 v17, null, s15, v17, vcc_lo
	global_load_dwordx4 v[16:19], v[16:17], off
	s_waitcnt vmcnt(0)
	v_add_f64 v[12:13], v[12:13], v[16:17]
	v_add_f64 v[14:15], v[14:15], v[18:19]
.LBB52_43:                              ;   in Loop: Header=BB52_10 Depth=2
	s_or_b32 exec_lo, exec_lo, s42
	s_or_b32 exec_lo, exec_lo, s1
	s_mov_b32 s1, exec_lo
	v_cmpx_eq_u32_e64 v1, v10
	s_cbranch_execnz .LBB52_21
	s_branch .LBB52_22
.LBB52_44:
	s_or_b32 exec_lo, exec_lo, s38
.LBB52_45:
	s_or_b32 exec_lo, exec_lo, s33
.LBB52_46:
	s_or_b32 exec_lo, exec_lo, s6
	v_mbcnt_lo_u32_b32 v5, -1, 0
	v_xor_b32_e32 v1, 4, v5
	v_xor_b32_e32 v6, 2, v5
	v_cmp_gt_i32_e32 vcc_lo, 32, v1
	v_cmp_gt_i32_e64 s0, 32, v6
	v_cndmask_b32_e32 v1, v5, v1, vcc_lo
	v_cndmask_b32_e64 v6, v5, v6, s0
	v_lshlrev_b32_e32 v2, 2, v1
	v_lshlrev_b32_e32 v6, 2, v6
	ds_bpermute_b32 v1, v2, v3
	ds_bpermute_b32 v2, v2, v4
	s_waitcnt lgkmcnt(0)
	v_cmp_lt_f64_e32 vcc_lo, v[3:4], v[1:2]
	v_cndmask_b32_e32 v2, v4, v2, vcc_lo
	v_cndmask_b32_e32 v1, v3, v1, vcc_lo
	ds_bpermute_b32 v4, v6, v2
	ds_bpermute_b32 v3, v6, v1
	v_xor_b32_e32 v6, 1, v5
	v_cmp_gt_i32_e64 s0, 32, v6
	v_cndmask_b32_e64 v5, v5, v6, s0
	s_mov_b32 s0, exec_lo
	v_lshlrev_b32_e32 v5, 2, v5
	s_waitcnt lgkmcnt(0)
	v_cmp_lt_f64_e32 vcc_lo, v[1:2], v[3:4]
	v_cndmask_b32_e32 v2, v2, v4, vcc_lo
	v_cndmask_b32_e32 v1, v1, v3, vcc_lo
	ds_bpermute_b32 v3, v5, v1
	ds_bpermute_b32 v5, v5, v2
	v_cmpx_eq_u32_e32 7, v21
	s_cbranch_execz .LBB52_48
; %bb.47:
	s_waitcnt lgkmcnt(0)
	v_mov_b32_e32 v4, v5
	v_cmp_lt_f64_e32 vcc_lo, v[1:2], v[3:4]
	v_lshlrev_b32_e32 v4, 3, v20
	v_cndmask_b32_e32 v2, v2, v5, vcc_lo
	v_cndmask_b32_e32 v1, v1, v3, vcc_lo
	ds_write_b64 v4, v[1:2]
.LBB52_48:
	s_or_b32 exec_lo, exec_lo, s0
	v_lshlrev_b32_e32 v1, 3, v0
	s_mov_b32 s0, exec_lo
	s_waitcnt lgkmcnt(0)
	s_barrier
	buffer_gl0_inv
	v_cmpx_gt_u32_e32 64, v0
	s_cbranch_execz .LBB52_50
; %bb.49:
	ds_read2st64_b64 v[2:5], v1 offset1:1
	s_waitcnt lgkmcnt(0)
	v_cmp_lt_f64_e32 vcc_lo, v[2:3], v[4:5]
	v_cndmask_b32_e32 v3, v3, v5, vcc_lo
	v_cndmask_b32_e32 v2, v2, v4, vcc_lo
	ds_write_b64 v1, v[2:3]
.LBB52_50:
	s_or_b32 exec_lo, exec_lo, s0
	s_mov_b32 s0, exec_lo
	s_waitcnt lgkmcnt(0)
	s_barrier
	buffer_gl0_inv
	v_cmpx_gt_u32_e32 32, v0
	s_cbranch_execz .LBB52_52
; %bb.51:
	ds_read2_b64 v[2:5], v1 offset1:32
	s_waitcnt lgkmcnt(0)
	v_cmp_lt_f64_e32 vcc_lo, v[2:3], v[4:5]
	v_cndmask_b32_e32 v3, v3, v5, vcc_lo
	v_cndmask_b32_e32 v2, v2, v4, vcc_lo
	ds_write_b64 v1, v[2:3]
.LBB52_52:
	s_or_b32 exec_lo, exec_lo, s0
	s_mov_b32 s0, exec_lo
	s_waitcnt lgkmcnt(0)
	s_barrier
	buffer_gl0_inv
	v_cmpx_gt_u32_e32 16, v0
	s_cbranch_execz .LBB52_54
; %bb.53:
	ds_read2_b64 v[2:5], v1 offset1:16
	s_waitcnt lgkmcnt(0)
	v_cmp_lt_f64_e32 vcc_lo, v[2:3], v[4:5]
	v_cndmask_b32_e32 v3, v3, v5, vcc_lo
	v_cndmask_b32_e32 v2, v2, v4, vcc_lo
	ds_write_b64 v1, v[2:3]
.LBB52_54:
	;; [unrolled: 15-line block ×5, first 2 shown]
	s_or_b32 exec_lo, exec_lo, s0
	v_cmp_eq_u32_e32 vcc_lo, 0, v0
	s_waitcnt lgkmcnt(0)
	s_barrier
	buffer_gl0_inv
	s_and_saveexec_b32 s1, vcc_lo
	s_cbranch_execz .LBB52_62
; %bb.61:
	v_mov_b32_e32 v4, 0
	ds_read_b128 v[0:3], v4
	s_waitcnt lgkmcnt(0)
	v_cmp_lt_f64_e64 s0, v[0:1], v[2:3]
	v_cndmask_b32_e64 v1, v1, v3, s0
	v_cndmask_b32_e64 v0, v0, v2, s0
	ds_write_b64 v4, v[0:1]
.LBB52_62:
	s_or_b32 exec_lo, exec_lo, s1
	s_waitcnt lgkmcnt(0)
	s_barrier
	buffer_gl0_inv
	s_and_saveexec_b32 s0, vcc_lo
	s_cbranch_execz .LBB52_66
; %bb.63:
	v_mbcnt_lo_u32_b32 v0, exec_lo, 0
	s_mov_b32 s6, 0
	v_cmp_eq_u32_e32 vcc_lo, 0, v0
	s_and_b32 exec_lo, exec_lo, vcc_lo
	s_cbranch_execz .LBB52_66
; %bb.64:
	s_load_dwordx4 s[0:3], s[4:5], 0x88
	v_mov_b32_e32 v6, 0
	ds_read_b64 v[0:1], v6
	s_waitcnt lgkmcnt(0)
	s_load_dwordx2 s[2:3], s[2:3], 0x0
	s_waitcnt lgkmcnt(0)
	v_div_scale_f64 v[2:3], null, s[2:3], s[2:3], v[0:1]
	v_rcp_f64_e32 v[4:5], v[2:3]
	v_fma_f64 v[7:8], -v[2:3], v[4:5], 1.0
	v_fma_f64 v[4:5], v[4:5], v[7:8], v[4:5]
	v_fma_f64 v[7:8], -v[2:3], v[4:5], 1.0
	v_fma_f64 v[4:5], v[4:5], v[7:8], v[4:5]
	v_div_scale_f64 v[7:8], vcc_lo, v[0:1], s[2:3], v[0:1]
	v_mul_f64 v[9:10], v[7:8], v[4:5]
	v_fma_f64 v[2:3], -v[2:3], v[9:10], v[7:8]
	v_div_fmas_f64 v[2:3], v[2:3], v[4:5], v[9:10]
	v_div_fixup_f64 v[0:1], v[2:3], s[2:3], v[0:1]
	s_load_dwordx2 s[2:3], s[0:1], 0x0
	s_waitcnt lgkmcnt(0)
	v_mov_b32_e32 v2, s2
	v_max_f64 v[4:5], v[0:1], v[0:1]
	v_mov_b32_e32 v3, s3
.LBB52_65:                              ; =>This Inner Loop Header: Depth=1
	v_max_f64 v[0:1], v[2:3], v[2:3]
	v_max_f64 v[0:1], v[0:1], v[4:5]
	global_atomic_cmpswap_x2 v[0:1], v6, v[0:3], s[0:1] glc
	s_waitcnt vmcnt(0)
	v_cmp_eq_u64_e32 vcc_lo, v[0:1], v[2:3]
	v_mov_b32_e32 v3, v1
	v_mov_b32_e32 v2, v0
	s_or_b32 s6, vcc_lo, s6
	s_andn2_b32 exec_lo, exec_lo, s6
	s_cbranch_execnz .LBB52_65
.LBB52_66:
	s_endpgm
	.section	.rodata,"a",@progbits
	.p2align	6, 0x0
	.amdhsa_kernel _ZN9rocsparseL19kernel_nrm_residualILi1024ELi8E21rocsparse_complex_numIdEiiEEvT3_T2_PKS4_S6_PKS3_PKT1_21rocsparse_index_base_S6_S6_S8_SB_SC_S6_S6_S8_SB_SC_SB_PNS_15floating_traitsIS9_E6data_tEPKSF_
		.amdhsa_group_segment_fixed_size 1024
		.amdhsa_private_segment_fixed_size 0
		.amdhsa_kernarg_size 152
		.amdhsa_user_sgpr_count 6
		.amdhsa_user_sgpr_private_segment_buffer 1
		.amdhsa_user_sgpr_dispatch_ptr 0
		.amdhsa_user_sgpr_queue_ptr 0
		.amdhsa_user_sgpr_kernarg_segment_ptr 1
		.amdhsa_user_sgpr_dispatch_id 0
		.amdhsa_user_sgpr_flat_scratch_init 0
		.amdhsa_user_sgpr_private_segment_size 0
		.amdhsa_wavefront_size32 1
		.amdhsa_uses_dynamic_stack 0
		.amdhsa_system_sgpr_private_segment_wavefront_offset 0
		.amdhsa_system_sgpr_workgroup_id_x 1
		.amdhsa_system_sgpr_workgroup_id_y 0
		.amdhsa_system_sgpr_workgroup_id_z 0
		.amdhsa_system_sgpr_workgroup_info 0
		.amdhsa_system_vgpr_workitem_id 0
		.amdhsa_next_free_vgpr 42
		.amdhsa_next_free_sgpr 49
		.amdhsa_reserve_vcc 1
		.amdhsa_reserve_flat_scratch 0
		.amdhsa_float_round_mode_32 0
		.amdhsa_float_round_mode_16_64 0
		.amdhsa_float_denorm_mode_32 3
		.amdhsa_float_denorm_mode_16_64 3
		.amdhsa_dx10_clamp 1
		.amdhsa_ieee_mode 1
		.amdhsa_fp16_overflow 0
		.amdhsa_workgroup_processor_mode 1
		.amdhsa_memory_ordered 1
		.amdhsa_forward_progress 1
		.amdhsa_shared_vgpr_count 0
		.amdhsa_exception_fp_ieee_invalid_op 0
		.amdhsa_exception_fp_denorm_src 0
		.amdhsa_exception_fp_ieee_div_zero 0
		.amdhsa_exception_fp_ieee_overflow 0
		.amdhsa_exception_fp_ieee_underflow 0
		.amdhsa_exception_fp_ieee_inexact 0
		.amdhsa_exception_int_div_zero 0
	.end_amdhsa_kernel
	.section	.text._ZN9rocsparseL19kernel_nrm_residualILi1024ELi8E21rocsparse_complex_numIdEiiEEvT3_T2_PKS4_S6_PKS3_PKT1_21rocsparse_index_base_S6_S6_S8_SB_SC_S6_S6_S8_SB_SC_SB_PNS_15floating_traitsIS9_E6data_tEPKSF_,"axG",@progbits,_ZN9rocsparseL19kernel_nrm_residualILi1024ELi8E21rocsparse_complex_numIdEiiEEvT3_T2_PKS4_S6_PKS3_PKT1_21rocsparse_index_base_S6_S6_S8_SB_SC_S6_S6_S8_SB_SC_SB_PNS_15floating_traitsIS9_E6data_tEPKSF_,comdat
.Lfunc_end52:
	.size	_ZN9rocsparseL19kernel_nrm_residualILi1024ELi8E21rocsparse_complex_numIdEiiEEvT3_T2_PKS4_S6_PKS3_PKT1_21rocsparse_index_base_S6_S6_S8_SB_SC_S6_S6_S8_SB_SC_SB_PNS_15floating_traitsIS9_E6data_tEPKSF_, .Lfunc_end52-_ZN9rocsparseL19kernel_nrm_residualILi1024ELi8E21rocsparse_complex_numIdEiiEEvT3_T2_PKS4_S6_PKS3_PKT1_21rocsparse_index_base_S6_S6_S8_SB_SC_S6_S6_S8_SB_SC_SB_PNS_15floating_traitsIS9_E6data_tEPKSF_
                                        ; -- End function
	.set _ZN9rocsparseL19kernel_nrm_residualILi1024ELi8E21rocsparse_complex_numIdEiiEEvT3_T2_PKS4_S6_PKS3_PKT1_21rocsparse_index_base_S6_S6_S8_SB_SC_S6_S6_S8_SB_SC_SB_PNS_15floating_traitsIS9_E6data_tEPKSF_.num_vgpr, 42
	.set _ZN9rocsparseL19kernel_nrm_residualILi1024ELi8E21rocsparse_complex_numIdEiiEEvT3_T2_PKS4_S6_PKS3_PKT1_21rocsparse_index_base_S6_S6_S8_SB_SC_S6_S6_S8_SB_SC_SB_PNS_15floating_traitsIS9_E6data_tEPKSF_.num_agpr, 0
	.set _ZN9rocsparseL19kernel_nrm_residualILi1024ELi8E21rocsparse_complex_numIdEiiEEvT3_T2_PKS4_S6_PKS3_PKT1_21rocsparse_index_base_S6_S6_S8_SB_SC_S6_S6_S8_SB_SC_SB_PNS_15floating_traitsIS9_E6data_tEPKSF_.numbered_sgpr, 49
	.set _ZN9rocsparseL19kernel_nrm_residualILi1024ELi8E21rocsparse_complex_numIdEiiEEvT3_T2_PKS4_S6_PKS3_PKT1_21rocsparse_index_base_S6_S6_S8_SB_SC_S6_S6_S8_SB_SC_SB_PNS_15floating_traitsIS9_E6data_tEPKSF_.num_named_barrier, 0
	.set _ZN9rocsparseL19kernel_nrm_residualILi1024ELi8E21rocsparse_complex_numIdEiiEEvT3_T2_PKS4_S6_PKS3_PKT1_21rocsparse_index_base_S6_S6_S8_SB_SC_S6_S6_S8_SB_SC_SB_PNS_15floating_traitsIS9_E6data_tEPKSF_.private_seg_size, 0
	.set _ZN9rocsparseL19kernel_nrm_residualILi1024ELi8E21rocsparse_complex_numIdEiiEEvT3_T2_PKS4_S6_PKS3_PKT1_21rocsparse_index_base_S6_S6_S8_SB_SC_S6_S6_S8_SB_SC_SB_PNS_15floating_traitsIS9_E6data_tEPKSF_.uses_vcc, 1
	.set _ZN9rocsparseL19kernel_nrm_residualILi1024ELi8E21rocsparse_complex_numIdEiiEEvT3_T2_PKS4_S6_PKS3_PKT1_21rocsparse_index_base_S6_S6_S8_SB_SC_S6_S6_S8_SB_SC_SB_PNS_15floating_traitsIS9_E6data_tEPKSF_.uses_flat_scratch, 0
	.set _ZN9rocsparseL19kernel_nrm_residualILi1024ELi8E21rocsparse_complex_numIdEiiEEvT3_T2_PKS4_S6_PKS3_PKT1_21rocsparse_index_base_S6_S6_S8_SB_SC_S6_S6_S8_SB_SC_SB_PNS_15floating_traitsIS9_E6data_tEPKSF_.has_dyn_sized_stack, 0
	.set _ZN9rocsparseL19kernel_nrm_residualILi1024ELi8E21rocsparse_complex_numIdEiiEEvT3_T2_PKS4_S6_PKS3_PKT1_21rocsparse_index_base_S6_S6_S8_SB_SC_S6_S6_S8_SB_SC_SB_PNS_15floating_traitsIS9_E6data_tEPKSF_.has_recursion, 0
	.set _ZN9rocsparseL19kernel_nrm_residualILi1024ELi8E21rocsparse_complex_numIdEiiEEvT3_T2_PKS4_S6_PKS3_PKT1_21rocsparse_index_base_S6_S6_S8_SB_SC_S6_S6_S8_SB_SC_SB_PNS_15floating_traitsIS9_E6data_tEPKSF_.has_indirect_call, 0
	.section	.AMDGPU.csdata,"",@progbits
; Kernel info:
; codeLenInByte = 3340
; TotalNumSgprs: 51
; NumVgprs: 42
; ScratchSize: 0
; MemoryBound: 1
; FloatMode: 240
; IeeeMode: 1
; LDSByteSize: 1024 bytes/workgroup (compile time only)
; SGPRBlocks: 0
; VGPRBlocks: 5
; NumSGPRsForWavesPerEU: 51
; NumVGPRsForWavesPerEU: 42
; Occupancy: 16
; WaveLimiterHint : 1
; COMPUTE_PGM_RSRC2:SCRATCH_EN: 0
; COMPUTE_PGM_RSRC2:USER_SGPR: 6
; COMPUTE_PGM_RSRC2:TRAP_HANDLER: 0
; COMPUTE_PGM_RSRC2:TGID_X_EN: 1
; COMPUTE_PGM_RSRC2:TGID_Y_EN: 0
; COMPUTE_PGM_RSRC2:TGID_Z_EN: 0
; COMPUTE_PGM_RSRC2:TIDIG_COMP_CNT: 0
	.section	.text._ZN9rocsparseL19kernel_nrm_residualILi1024ELi16E21rocsparse_complex_numIdEiiEEvT3_T2_PKS4_S6_PKS3_PKT1_21rocsparse_index_base_S6_S6_S8_SB_SC_S6_S6_S8_SB_SC_SB_PNS_15floating_traitsIS9_E6data_tEPKSF_,"axG",@progbits,_ZN9rocsparseL19kernel_nrm_residualILi1024ELi16E21rocsparse_complex_numIdEiiEEvT3_T2_PKS4_S6_PKS3_PKT1_21rocsparse_index_base_S6_S6_S8_SB_SC_S6_S6_S8_SB_SC_SB_PNS_15floating_traitsIS9_E6data_tEPKSF_,comdat
	.globl	_ZN9rocsparseL19kernel_nrm_residualILi1024ELi16E21rocsparse_complex_numIdEiiEEvT3_T2_PKS4_S6_PKS3_PKT1_21rocsparse_index_base_S6_S6_S8_SB_SC_S6_S6_S8_SB_SC_SB_PNS_15floating_traitsIS9_E6data_tEPKSF_ ; -- Begin function _ZN9rocsparseL19kernel_nrm_residualILi1024ELi16E21rocsparse_complex_numIdEiiEEvT3_T2_PKS4_S6_PKS3_PKT1_21rocsparse_index_base_S6_S6_S8_SB_SC_S6_S6_S8_SB_SC_SB_PNS_15floating_traitsIS9_E6data_tEPKSF_
	.p2align	8
	.type	_ZN9rocsparseL19kernel_nrm_residualILi1024ELi16E21rocsparse_complex_numIdEiiEEvT3_T2_PKS4_S6_PKS3_PKT1_21rocsparse_index_base_S6_S6_S8_SB_SC_S6_S6_S8_SB_SC_SB_PNS_15floating_traitsIS9_E6data_tEPKSF_,@function
_ZN9rocsparseL19kernel_nrm_residualILi1024ELi16E21rocsparse_complex_numIdEiiEEvT3_T2_PKS4_S6_PKS3_PKT1_21rocsparse_index_base_S6_S6_S8_SB_SC_S6_S6_S8_SB_SC_SB_PNS_15floating_traitsIS9_E6data_tEPKSF_: ; @_ZN9rocsparseL19kernel_nrm_residualILi1024ELi16E21rocsparse_complex_numIdEiiEEvT3_T2_PKS4_S6_PKS3_PKT1_21rocsparse_index_base_S6_S6_S8_SB_SC_S6_S6_S8_SB_SC_SB_PNS_15floating_traitsIS9_E6data_tEPKSF_
; %bb.0:
	s_load_dword s7, s[4:5], 0x0
	v_lshrrev_b32_e32 v20, 4, v0
	s_lshl_b32 s34, s6, 10
	v_mov_b32_e32 v3, 0
	v_and_b32_e32 v21, 15, v0
	v_mov_b32_e32 v4, 0
	v_or_b32_e32 v1, s34, v20
	s_mov_b32 s6, exec_lo
	s_waitcnt lgkmcnt(0)
	v_cmpx_gt_i32_e64 s7, v1
	s_cbranch_execz .LBB53_46
; %bb.1:
	v_mov_b32_e32 v3, 0
	v_mov_b32_e32 v4, 0
	s_addk_i32 s34, 0x400
	s_mov_b32 s33, exec_lo
	v_cmpx_gt_u32_e64 s34, v1
	s_cbranch_execz .LBB53_45
; %bb.2:
	s_clause 0x6
	s_load_dword s35, s[4:5], 0x28
	s_load_dwordx8 s[8:15], s[4:5], 0x58
	s_load_dwordx8 s[16:23], s[4:5], 0x30
	;; [unrolled: 1-line block ×3, first 2 shown]
	s_load_dword s36, s[4:5], 0x50
	s_load_dwordx2 s[2:3], s[4:5], 0x80
	s_load_dword s37, s[4:5], 0x78
	v_mov_b32_e32 v3, 0
	v_mov_b32_e32 v4, 0
	;; [unrolled: 1-line block ×3, first 2 shown]
	s_mov_b32 s38, 0
	s_waitcnt lgkmcnt(0)
	v_subrev_nc_u32_e32 v22, s35, v21
	s_branch .LBB53_6
.LBB53_3:                               ;   in Loop: Header=BB53_6 Depth=1
	s_or_b32 exec_lo, exec_lo, s41
.LBB53_4:                               ;   in Loop: Header=BB53_6 Depth=1
	s_or_b32 exec_lo, exec_lo, s40
.LBB53_5:                               ;   in Loop: Header=BB53_6 Depth=1
	s_or_b32 exec_lo, exec_lo, s39
	v_add_nc_u32_e32 v1, 64, v1
	v_cmp_le_u32_e32 vcc_lo, s34, v1
	s_or_b32 s38, vcc_lo, s38
	s_andn2_b32 exec_lo, exec_lo, s38
	s_cbranch_execz .LBB53_44
.LBB53_6:                               ; =>This Loop Header: Depth=1
                                        ;     Child Loop BB53_10 Depth 2
                                        ;       Child Loop BB53_14 Depth 3
                                        ;       Child Loop BB53_31 Depth 3
	;; [unrolled: 1-line block ×3, first 2 shown]
	s_mov_b32 s39, exec_lo
	v_cmpx_gt_i32_e64 s7, v1
	s_cbranch_execz .LBB53_5
; %bb.7:                                ;   in Loop: Header=BB53_6 Depth=1
	v_ashrrev_i32_e32 v2, 31, v1
	s_mov_b32 s40, exec_lo
	v_lshlrev_b64 v[8:9], 2, v[1:2]
	v_add_co_u32 v10, vcc_lo, s24, v8
	v_add_co_ci_u32_e64 v11, null, s25, v9, vcc_lo
	v_add_co_u32 v12, vcc_lo, s26, v8
	v_add_co_ci_u32_e64 v13, null, s27, v9, vcc_lo
	global_load_dword v2, v[10:11], off
	global_load_dword v5, v[12:13], off
	s_waitcnt vmcnt(1)
	v_add_nc_u32_e32 v7, v22, v2
	s_waitcnt vmcnt(0)
	v_subrev_nc_u32_e32 v2, s35, v5
	v_cmpx_lt_i32_e64 v7, v2
	s_cbranch_execz .LBB53_4
; %bb.8:                                ;   in Loop: Header=BB53_6 Depth=1
	v_add_co_u32 v10, vcc_lo, s16, v8
	v_add_co_ci_u32_e64 v11, null, s17, v9, vcc_lo
	v_add_co_u32 v8, vcc_lo, s18, v8
	v_add_co_ci_u32_e64 v9, null, s19, v9, vcc_lo
	global_load_dword v5, v[10:11], off
	s_mov_b32 s41, 0
	global_load_dword v8, v[8:9], off
	s_waitcnt vmcnt(1)
	v_subrev_nc_u32_e32 v9, s36, v5
	s_waitcnt vmcnt(0)
	v_sub_nc_u32_e32 v23, v8, v5
	v_ashrrev_i32_e32 v10, 31, v9
	v_cmp_lt_i32_e64 s0, 0, v23
	v_lshlrev_b64 v[11:12], 2, v[9:10]
	v_lshlrev_b64 v[13:14], 4, v[9:10]
	v_add_co_u32 v24, vcc_lo, s20, v11
	v_add_co_ci_u32_e64 v25, null, s21, v12, vcc_lo
	v_add_co_u32 v26, vcc_lo, s22, v13
	v_add_co_ci_u32_e64 v27, null, s23, v14, vcc_lo
	s_branch .LBB53_10
.LBB53_9:                               ;   in Loop: Header=BB53_10 Depth=2
	s_or_b32 exec_lo, exec_lo, s1
	v_cmp_nlg_f64_e64 s42, 0x7ff00000, |v[14:15]|
	v_cmp_gt_f64_e32 vcc_lo, v[3:4], v[14:15]
	v_add_nc_u32_e32 v7, 16, v7
	v_cmp_ge_i32_e64 s1, v7, v2
	s_or_b32 vcc_lo, s42, vcc_lo
	s_or_b32 s41, s1, s41
	v_cndmask_b32_e32 v4, v15, v4, vcc_lo
	v_cndmask_b32_e32 v3, v14, v3, vcc_lo
	s_andn2_b32 exec_lo, exec_lo, s41
	s_cbranch_execz .LBB53_3
.LBB53_10:                              ;   Parent Loop BB53_6 Depth=1
                                        ; =>  This Loop Header: Depth=2
                                        ;       Child Loop BB53_14 Depth 3
                                        ;       Child Loop BB53_31 Depth 3
	;; [unrolled: 1-line block ×3, first 2 shown]
	v_ashrrev_i32_e32 v8, 31, v7
	v_lshlrev_b64 v[10:11], 2, v[7:8]
	v_add_co_u32 v10, vcc_lo, s28, v10
	v_add_co_ci_u32_e64 v11, null, s29, v11, vcc_lo
	global_load_dword v5, v[10:11], off
	s_waitcnt vmcnt(0)
	v_subrev_nc_u32_e32 v10, s35, v5
	v_mov_b32_e32 v5, 0
	v_ashrrev_i32_e32 v11, 31, v10
	v_lshlrev_b64 v[12:13], 2, v[10:11]
	v_add_co_u32 v14, vcc_lo, s8, v12
	v_add_co_ci_u32_e64 v15, null, s9, v13, vcc_lo
	v_add_co_u32 v12, vcc_lo, s10, v12
	v_add_co_ci_u32_e64 v13, null, s11, v13, vcc_lo
	global_load_dword v17, v[14:15], off
	global_load_dword v18, v[12:13], off
	v_mov_b32_e32 v12, 0
	v_mov_b32_e32 v14, 0
	;; [unrolled: 1-line block ×4, first 2 shown]
	s_waitcnt vmcnt(1)
	v_subrev_nc_u32_e32 v16, s37, v17
	s_waitcnt vmcnt(0)
	v_sub_nc_u32_e32 v28, v18, v17
	v_mov_b32_e32 v17, v5
	s_and_saveexec_b32 s42, s0
	s_cbranch_execz .LBB53_18
; %bb.11:                               ;   in Loop: Header=BB53_10 Depth=2
	v_ashrrev_i32_e32 v17, 31, v16
	v_mov_b32_e32 v12, 0
	v_mov_b32_e32 v13, 0
	;; [unrolled: 1-line block ×3, first 2 shown]
	s_mov_b32 s43, 0
	v_lshlrev_b64 v[14:15], 2, v[16:17]
	v_lshlrev_b64 v[17:18], 4, v[16:17]
                                        ; implicit-def: $sgpr44
	v_add_co_u32 v19, vcc_lo, s12, v14
	v_add_co_ci_u32_e64 v29, null, s13, v15, vcc_lo
	v_add_co_u32 v30, vcc_lo, s14, v17
	v_mov_b32_e32 v14, 0
	v_add_co_ci_u32_e64 v31, null, s15, v18, vcc_lo
	v_mov_b32_e32 v17, 0
	v_mov_b32_e32 v15, 0
	s_branch .LBB53_14
.LBB53_12:                              ;   in Loop: Header=BB53_14 Depth=3
	s_or_b32 exec_lo, exec_lo, s1
	v_cmp_le_i32_e32 vcc_lo, v32, v33
	v_cmp_ge_i32_e64 s1, v32, v33
	v_add_co_ci_u32_e64 v5, null, 0, v5, vcc_lo
	v_add_co_ci_u32_e64 v17, null, 0, v17, s1
	s_andn2_b32 s1, s44, exec_lo
	v_cmp_ge_i32_e32 vcc_lo, v5, v23
	s_and_b32 s44, vcc_lo, exec_lo
	s_or_b32 s44, s1, s44
.LBB53_13:                              ;   in Loop: Header=BB53_14 Depth=3
	s_or_b32 exec_lo, exec_lo, s45
	s_and_b32 s1, exec_lo, s44
	s_or_b32 s43, s1, s43
	s_andn2_b32 exec_lo, exec_lo, s43
	s_cbranch_execz .LBB53_17
.LBB53_14:                              ;   Parent Loop BB53_6 Depth=1
                                        ;     Parent Loop BB53_10 Depth=2
                                        ; =>    This Inner Loop Header: Depth=3
	s_or_b32 s44, s44, exec_lo
	s_mov_b32 s45, exec_lo
	v_cmpx_lt_i32_e64 v17, v28
	s_cbranch_execz .LBB53_13
; %bb.15:                               ;   in Loop: Header=BB53_14 Depth=3
	v_mov_b32_e32 v18, v6
	v_lshlrev_b64 v[32:33], 2, v[5:6]
	s_mov_b32 s1, exec_lo
	v_lshlrev_b64 v[34:35], 2, v[17:18]
	v_add_co_u32 v32, vcc_lo, v24, v32
	v_add_co_ci_u32_e64 v33, null, v25, v33, vcc_lo
	v_add_co_u32 v34, vcc_lo, v19, v34
	v_add_co_ci_u32_e64 v35, null, v29, v35, vcc_lo
	global_load_dword v32, v[32:33], off
	global_load_dword v33, v[34:35], off
	s_waitcnt vmcnt(1)
	v_subrev_nc_u32_e32 v32, s36, v32
	s_waitcnt vmcnt(0)
	v_subrev_nc_u32_e32 v33, s37, v33
	v_cmpx_eq_u32_e64 v32, v33
	s_cbranch_execz .LBB53_12
; %bb.16:                               ;   in Loop: Header=BB53_14 Depth=3
	v_lshlrev_b64 v[34:35], 4, v[5:6]
	v_lshlrev_b64 v[36:37], 4, v[17:18]
	v_add_co_u32 v34, vcc_lo, v26, v34
	v_add_co_ci_u32_e64 v35, null, v27, v35, vcc_lo
	v_add_co_u32 v38, vcc_lo, v30, v36
	v_add_co_ci_u32_e64 v39, null, v31, v37, vcc_lo
	global_load_dwordx4 v[34:37], v[34:35], off
	global_load_dwordx4 v[38:41], v[38:39], off
	s_waitcnt vmcnt(0)
	v_fma_f64 v[12:13], v[34:35], v[38:39], v[12:13]
	v_fma_f64 v[14:15], v[36:37], v[38:39], v[14:15]
	v_fma_f64 v[12:13], -v[36:37], v[40:41], v[12:13]
	v_fma_f64 v[14:15], v[34:35], v[40:41], v[14:15]
	s_branch .LBB53_12
.LBB53_17:                              ;   in Loop: Header=BB53_10 Depth=2
	s_or_b32 exec_lo, exec_lo, s43
.LBB53_18:                              ;   in Loop: Header=BB53_10 Depth=2
	s_or_b32 exec_lo, exec_lo, s42
	s_mov_b32 s1, exec_lo
	v_cmpx_ge_i32_e64 v17, v28
	s_xor_b32 s1, exec_lo, s1
	s_cbranch_execnz .LBB53_28
; %bb.19:                               ;   in Loop: Header=BB53_10 Depth=2
	s_andn2_saveexec_b32 s1, s1
	s_cbranch_execnz .LBB53_37
.LBB53_20:                              ;   in Loop: Header=BB53_10 Depth=2
	s_or_b32 exec_lo, exec_lo, s1
	s_mov_b32 s1, exec_lo
	v_cmpx_eq_u32_e64 v1, v10
	s_cbranch_execz .LBB53_22
.LBB53_21:                              ;   in Loop: Header=BB53_10 Depth=2
	v_lshlrev_b64 v[10:11], 4, v[10:11]
	v_add_co_u32 v10, vcc_lo, s2, v10
	v_add_co_ci_u32_e64 v11, null, s3, v11, vcc_lo
	global_load_dwordx4 v[16:19], v[10:11], off
	s_waitcnt vmcnt(0)
	v_add_f64 v[12:13], v[12:13], v[16:17]
	v_add_f64 v[14:15], v[14:15], v[18:19]
.LBB53_22:                              ;   in Loop: Header=BB53_10 Depth=2
	s_or_b32 exec_lo, exec_lo, s1
	v_lshlrev_b64 v[10:11], 4, v[7:8]
	s_mov_b32 s1, exec_lo
	v_add_co_u32 v10, vcc_lo, s30, v10
	v_add_co_ci_u32_e64 v11, null, s31, v11, vcc_lo
	global_load_dwordx4 v[16:19], v[10:11], off
	s_waitcnt vmcnt(0)
	v_add_f64 v[10:11], v[16:17], -v[12:13]
	v_add_f64 v[16:17], v[18:19], -v[14:15]
                                        ; implicit-def: $vgpr14_vgpr15
	v_cmp_gt_f64_e32 vcc_lo, 0, v[10:11]
	v_xor_b32_e32 v5, 0x80000000, v11
	v_xor_b32_e32 v8, 0x80000000, v17
	v_mov_b32_e32 v12, v16
	v_cndmask_b32_e32 v11, v11, v5, vcc_lo
	v_cmp_gt_f64_e32 vcc_lo, 0, v[16:17]
	v_cndmask_b32_e32 v13, v17, v8, vcc_lo
	v_cmpx_ngt_f64_e32 v[10:11], v[12:13]
	s_xor_b32 s1, exec_lo, s1
	s_cbranch_execz .LBB53_26
; %bb.23:                               ;   in Loop: Header=BB53_10 Depth=2
	v_mov_b32_e32 v14, 0
	v_mov_b32_e32 v15, 0
	s_mov_b32 s42, exec_lo
	v_cmpx_neq_f64_e32 0, v[16:17]
	s_cbranch_execz .LBB53_25
; %bb.24:                               ;   in Loop: Header=BB53_10 Depth=2
	v_div_scale_f64 v[14:15], null, v[12:13], v[12:13], v[10:11]
	v_div_scale_f64 v[28:29], vcc_lo, v[10:11], v[12:13], v[10:11]
	v_rcp_f64_e32 v[16:17], v[14:15]
	v_fma_f64 v[18:19], -v[14:15], v[16:17], 1.0
	v_fma_f64 v[16:17], v[16:17], v[18:19], v[16:17]
	v_fma_f64 v[18:19], -v[14:15], v[16:17], 1.0
	v_fma_f64 v[16:17], v[16:17], v[18:19], v[16:17]
	v_mul_f64 v[18:19], v[28:29], v[16:17]
	v_fma_f64 v[14:15], -v[14:15], v[18:19], v[28:29]
	v_div_fmas_f64 v[14:15], v[14:15], v[16:17], v[18:19]
	v_div_fixup_f64 v[10:11], v[14:15], v[12:13], v[10:11]
	v_fma_f64 v[10:11], v[10:11], v[10:11], 1.0
	v_cmp_gt_f64_e32 vcc_lo, 0x10000000, v[10:11]
	v_cndmask_b32_e64 v5, 0, 0x100, vcc_lo
	v_ldexp_f64 v[10:11], v[10:11], v5
	v_cndmask_b32_e64 v5, 0, 0xffffff80, vcc_lo
	v_rsq_f64_e32 v[14:15], v[10:11]
	v_cmp_class_f64_e64 vcc_lo, v[10:11], 0x260
	v_mul_f64 v[16:17], v[10:11], v[14:15]
	v_mul_f64 v[14:15], v[14:15], 0.5
	v_fma_f64 v[18:19], -v[14:15], v[16:17], 0.5
	v_fma_f64 v[16:17], v[16:17], v[18:19], v[16:17]
	v_fma_f64 v[14:15], v[14:15], v[18:19], v[14:15]
	v_fma_f64 v[18:19], -v[16:17], v[16:17], v[10:11]
	v_fma_f64 v[16:17], v[18:19], v[14:15], v[16:17]
	v_fma_f64 v[18:19], -v[16:17], v[16:17], v[10:11]
	v_fma_f64 v[14:15], v[18:19], v[14:15], v[16:17]
	v_ldexp_f64 v[14:15], v[14:15], v5
	v_cndmask_b32_e32 v11, v15, v11, vcc_lo
	v_cndmask_b32_e32 v10, v14, v10, vcc_lo
	v_mul_f64 v[14:15], v[12:13], v[10:11]
.LBB53_25:                              ;   in Loop: Header=BB53_10 Depth=2
	s_or_b32 exec_lo, exec_lo, s42
                                        ; implicit-def: $vgpr10_vgpr11
                                        ; implicit-def: $vgpr12_vgpr13
.LBB53_26:                              ;   in Loop: Header=BB53_10 Depth=2
	s_andn2_saveexec_b32 s1, s1
	s_cbranch_execz .LBB53_9
; %bb.27:                               ;   in Loop: Header=BB53_10 Depth=2
	v_div_scale_f64 v[14:15], null, v[10:11], v[10:11], v[12:13]
	v_div_scale_f64 v[28:29], vcc_lo, v[12:13], v[10:11], v[12:13]
	v_rcp_f64_e32 v[16:17], v[14:15]
	v_fma_f64 v[18:19], -v[14:15], v[16:17], 1.0
	v_fma_f64 v[16:17], v[16:17], v[18:19], v[16:17]
	v_fma_f64 v[18:19], -v[14:15], v[16:17], 1.0
	v_fma_f64 v[16:17], v[16:17], v[18:19], v[16:17]
	v_mul_f64 v[18:19], v[28:29], v[16:17]
	v_fma_f64 v[14:15], -v[14:15], v[18:19], v[28:29]
	v_div_fmas_f64 v[14:15], v[14:15], v[16:17], v[18:19]
	v_div_fixup_f64 v[12:13], v[14:15], v[10:11], v[12:13]
	v_fma_f64 v[12:13], v[12:13], v[12:13], 1.0
	v_cmp_gt_f64_e32 vcc_lo, 0x10000000, v[12:13]
	v_cndmask_b32_e64 v5, 0, 0x100, vcc_lo
	v_ldexp_f64 v[12:13], v[12:13], v5
	v_cndmask_b32_e64 v5, 0, 0xffffff80, vcc_lo
	v_rsq_f64_e32 v[14:15], v[12:13]
	v_cmp_class_f64_e64 vcc_lo, v[12:13], 0x260
	v_mul_f64 v[16:17], v[12:13], v[14:15]
	v_mul_f64 v[14:15], v[14:15], 0.5
	v_fma_f64 v[18:19], -v[14:15], v[16:17], 0.5
	v_fma_f64 v[16:17], v[16:17], v[18:19], v[16:17]
	v_fma_f64 v[14:15], v[14:15], v[18:19], v[14:15]
	v_fma_f64 v[18:19], -v[16:17], v[16:17], v[12:13]
	v_fma_f64 v[16:17], v[18:19], v[14:15], v[16:17]
	v_fma_f64 v[18:19], -v[16:17], v[16:17], v[12:13]
	v_fma_f64 v[14:15], v[18:19], v[14:15], v[16:17]
	v_ldexp_f64 v[14:15], v[14:15], v5
	v_cndmask_b32_e32 v13, v15, v13, vcc_lo
	v_cndmask_b32_e32 v12, v14, v12, vcc_lo
	v_mul_f64 v[14:15], v[10:11], v[12:13]
	s_branch .LBB53_9
.LBB53_28:                              ;   in Loop: Header=BB53_10 Depth=2
	s_mov_b32 s42, exec_lo
	v_cmpx_lt_i32_e64 v5, v23
	s_cbranch_execz .LBB53_36
; %bb.29:                               ;   in Loop: Header=BB53_10 Depth=2
	s_mov_b32 s44, 0
                                        ; implicit-def: $sgpr43
                                        ; implicit-def: $sgpr46
                                        ; implicit-def: $sgpr45
	s_inst_prefetch 0x1
	s_branch .LBB53_31
	.p2align	6
.LBB53_30:                              ;   in Loop: Header=BB53_31 Depth=3
	s_or_b32 exec_lo, exec_lo, s47
	s_and_b32 s47, exec_lo, s46
	s_or_b32 s44, s47, s44
	s_andn2_b32 s43, s43, exec_lo
	s_and_b32 s47, s45, exec_lo
	s_or_b32 s43, s43, s47
	s_andn2_b32 exec_lo, exec_lo, s44
	s_cbranch_execz .LBB53_33
.LBB53_31:                              ;   Parent Loop BB53_6 Depth=1
                                        ;     Parent Loop BB53_10 Depth=2
                                        ; =>    This Inner Loop Header: Depth=3
	v_add_nc_u32_e32 v16, v9, v5
	s_or_b32 s45, s45, exec_lo
	s_or_b32 s46, s46, exec_lo
	s_mov_b32 s47, exec_lo
	v_ashrrev_i32_e32 v17, 31, v16
	v_lshlrev_b64 v[18:19], 2, v[16:17]
	v_add_co_u32 v18, vcc_lo, s20, v18
	v_add_co_ci_u32_e64 v19, null, s21, v19, vcc_lo
	global_load_dword v18, v[18:19], off
	s_waitcnt vmcnt(0)
	v_subrev_nc_u32_e32 v18, s36, v18
	v_cmpx_ne_u32_e64 v18, v10
	s_cbranch_execz .LBB53_30
; %bb.32:                               ;   in Loop: Header=BB53_31 Depth=3
	v_add_nc_u32_e32 v5, 1, v5
	s_andn2_b32 s46, s46, exec_lo
	s_andn2_b32 s45, s45, exec_lo
	v_cmp_ge_i32_e32 vcc_lo, v5, v23
	s_and_b32 s48, vcc_lo, exec_lo
	s_or_b32 s46, s46, s48
	s_branch .LBB53_30
.LBB53_33:                              ;   in Loop: Header=BB53_10 Depth=2
	s_inst_prefetch 0x2
	s_or_b32 exec_lo, exec_lo, s44
	s_and_saveexec_b32 s44, s43
	s_xor_b32 s43, exec_lo, s44
	s_cbranch_execz .LBB53_35
; %bb.34:                               ;   in Loop: Header=BB53_10 Depth=2
	v_lshlrev_b64 v[18:19], 4, v[10:11]
	v_lshlrev_b64 v[16:17], 4, v[16:17]
	v_add_co_u32 v18, vcc_lo, s2, v18
	v_add_co_ci_u32_e64 v19, null, s3, v19, vcc_lo
	v_add_co_u32 v28, vcc_lo, s22, v16
	v_add_co_ci_u32_e64 v29, null, s23, v17, vcc_lo
	global_load_dwordx4 v[16:19], v[18:19], off
	global_load_dwordx4 v[28:31], v[28:29], off
	s_waitcnt vmcnt(0)
	v_mul_f64 v[32:33], v[18:19], -v[30:31]
	v_mul_f64 v[18:19], v[18:19], v[28:29]
	v_fma_f64 v[28:29], v[28:29], v[16:17], v[32:33]
	v_fma_f64 v[16:17], v[30:31], v[16:17], v[18:19]
	v_add_f64 v[12:13], v[12:13], v[28:29]
	v_add_f64 v[14:15], v[14:15], v[16:17]
.LBB53_35:                              ;   in Loop: Header=BB53_10 Depth=2
	s_or_b32 exec_lo, exec_lo, s43
.LBB53_36:                              ;   in Loop: Header=BB53_10 Depth=2
	s_or_b32 exec_lo, exec_lo, s42
                                        ; implicit-def: $vgpr17
                                        ; implicit-def: $vgpr16
                                        ; implicit-def: $vgpr28
	s_andn2_saveexec_b32 s1, s1
	s_cbranch_execz .LBB53_20
.LBB53_37:                              ;   in Loop: Header=BB53_10 Depth=2
	s_mov_b32 s43, 0
                                        ; implicit-def: $sgpr42
                                        ; implicit-def: $sgpr45
                                        ; implicit-def: $sgpr44
	s_inst_prefetch 0x1
	s_branch .LBB53_39
	.p2align	6
.LBB53_38:                              ;   in Loop: Header=BB53_39 Depth=3
	s_or_b32 exec_lo, exec_lo, s46
	s_and_b32 s46, exec_lo, s45
	s_or_b32 s43, s46, s43
	s_andn2_b32 s42, s42, exec_lo
	s_and_b32 s46, s44, exec_lo
	s_or_b32 s42, s42, s46
	s_andn2_b32 exec_lo, exec_lo, s43
	s_cbranch_execz .LBB53_41
.LBB53_39:                              ;   Parent Loop BB53_6 Depth=1
                                        ;     Parent Loop BB53_10 Depth=2
                                        ; =>    This Inner Loop Header: Depth=3
	v_add_nc_u32_e32 v18, v16, v17
	s_or_b32 s44, s44, exec_lo
	s_or_b32 s45, s45, exec_lo
	s_mov_b32 s46, exec_lo
	v_ashrrev_i32_e32 v19, 31, v18
	v_lshlrev_b64 v[29:30], 2, v[18:19]
	v_add_co_u32 v29, vcc_lo, s12, v29
	v_add_co_ci_u32_e64 v30, null, s13, v30, vcc_lo
	global_load_dword v5, v[29:30], off
	s_waitcnt vmcnt(0)
	v_subrev_nc_u32_e32 v5, s37, v5
	v_cmpx_ne_u32_e64 v5, v1
	s_cbranch_execz .LBB53_38
; %bb.40:                               ;   in Loop: Header=BB53_39 Depth=3
	v_add_nc_u32_e32 v17, 1, v17
	s_andn2_b32 s45, s45, exec_lo
	s_andn2_b32 s44, s44, exec_lo
	v_cmp_ge_i32_e32 vcc_lo, v17, v28
	s_and_b32 s47, vcc_lo, exec_lo
	s_or_b32 s45, s45, s47
	s_branch .LBB53_38
.LBB53_41:                              ;   in Loop: Header=BB53_10 Depth=2
	s_inst_prefetch 0x2
	s_or_b32 exec_lo, exec_lo, s43
	s_and_saveexec_b32 s43, s42
	s_xor_b32 s42, exec_lo, s43
	s_cbranch_execz .LBB53_43
; %bb.42:                               ;   in Loop: Header=BB53_10 Depth=2
	v_lshlrev_b64 v[16:17], 4, v[18:19]
	v_add_co_u32 v16, vcc_lo, s14, v16
	v_add_co_ci_u32_e64 v17, null, s15, v17, vcc_lo
	global_load_dwordx4 v[16:19], v[16:17], off
	s_waitcnt vmcnt(0)
	v_add_f64 v[12:13], v[12:13], v[16:17]
	v_add_f64 v[14:15], v[14:15], v[18:19]
.LBB53_43:                              ;   in Loop: Header=BB53_10 Depth=2
	s_or_b32 exec_lo, exec_lo, s42
	s_or_b32 exec_lo, exec_lo, s1
	s_mov_b32 s1, exec_lo
	v_cmpx_eq_u32_e64 v1, v10
	s_cbranch_execnz .LBB53_21
	s_branch .LBB53_22
.LBB53_44:
	s_or_b32 exec_lo, exec_lo, s38
.LBB53_45:
	s_or_b32 exec_lo, exec_lo, s33
.LBB53_46:
	s_or_b32 exec_lo, exec_lo, s6
	v_mbcnt_lo_u32_b32 v5, -1, 0
	v_xor_b32_e32 v1, 8, v5
	v_xor_b32_e32 v6, 4, v5
	v_cmp_gt_i32_e32 vcc_lo, 32, v1
	v_cmp_gt_i32_e64 s0, 32, v6
	v_cndmask_b32_e32 v1, v5, v1, vcc_lo
	v_cndmask_b32_e64 v6, v5, v6, s0
	v_lshlrev_b32_e32 v2, 2, v1
	v_lshlrev_b32_e32 v6, 2, v6
	ds_bpermute_b32 v1, v2, v3
	ds_bpermute_b32 v2, v2, v4
	s_waitcnt lgkmcnt(0)
	v_cmp_lt_f64_e32 vcc_lo, v[3:4], v[1:2]
	v_cndmask_b32_e32 v2, v4, v2, vcc_lo
	v_cndmask_b32_e32 v1, v3, v1, vcc_lo
	ds_bpermute_b32 v4, v6, v2
	ds_bpermute_b32 v3, v6, v1
	v_xor_b32_e32 v6, 2, v5
	v_cmp_gt_i32_e64 s0, 32, v6
	v_cndmask_b32_e64 v6, v5, v6, s0
	v_lshlrev_b32_e32 v6, 2, v6
	s_waitcnt lgkmcnt(0)
	v_cmp_lt_f64_e32 vcc_lo, v[1:2], v[3:4]
	v_cndmask_b32_e32 v2, v2, v4, vcc_lo
	v_cndmask_b32_e32 v1, v1, v3, vcc_lo
	ds_bpermute_b32 v4, v6, v2
	ds_bpermute_b32 v3, v6, v1
	v_xor_b32_e32 v6, 1, v5
	v_cmp_gt_i32_e64 s0, 32, v6
	v_cndmask_b32_e64 v5, v5, v6, s0
	s_mov_b32 s0, exec_lo
	v_lshlrev_b32_e32 v5, 2, v5
	s_waitcnt lgkmcnt(0)
	v_cmp_lt_f64_e32 vcc_lo, v[1:2], v[3:4]
	v_cndmask_b32_e32 v2, v2, v4, vcc_lo
	v_cndmask_b32_e32 v1, v1, v3, vcc_lo
	ds_bpermute_b32 v3, v5, v1
	ds_bpermute_b32 v5, v5, v2
	v_cmpx_eq_u32_e32 15, v21
	s_cbranch_execz .LBB53_48
; %bb.47:
	s_waitcnt lgkmcnt(0)
	v_mov_b32_e32 v4, v5
	v_cmp_lt_f64_e32 vcc_lo, v[1:2], v[3:4]
	v_lshlrev_b32_e32 v4, 3, v20
	v_cndmask_b32_e32 v2, v2, v5, vcc_lo
	v_cndmask_b32_e32 v1, v1, v3, vcc_lo
	ds_write_b64 v4, v[1:2]
.LBB53_48:
	s_or_b32 exec_lo, exec_lo, s0
	v_lshlrev_b32_e32 v1, 3, v0
	s_mov_b32 s0, exec_lo
	s_waitcnt lgkmcnt(0)
	s_barrier
	buffer_gl0_inv
	v_cmpx_gt_u32_e32 32, v0
	s_cbranch_execz .LBB53_50
; %bb.49:
	ds_read2_b64 v[2:5], v1 offset1:32
	s_waitcnt lgkmcnt(0)
	v_cmp_lt_f64_e32 vcc_lo, v[2:3], v[4:5]
	v_cndmask_b32_e32 v3, v3, v5, vcc_lo
	v_cndmask_b32_e32 v2, v2, v4, vcc_lo
	ds_write_b64 v1, v[2:3]
.LBB53_50:
	s_or_b32 exec_lo, exec_lo, s0
	s_mov_b32 s0, exec_lo
	s_waitcnt lgkmcnt(0)
	s_barrier
	buffer_gl0_inv
	v_cmpx_gt_u32_e32 16, v0
	s_cbranch_execz .LBB53_52
; %bb.51:
	ds_read2_b64 v[2:5], v1 offset1:16
	s_waitcnt lgkmcnt(0)
	v_cmp_lt_f64_e32 vcc_lo, v[2:3], v[4:5]
	v_cndmask_b32_e32 v3, v3, v5, vcc_lo
	v_cndmask_b32_e32 v2, v2, v4, vcc_lo
	ds_write_b64 v1, v[2:3]
.LBB53_52:
	s_or_b32 exec_lo, exec_lo, s0
	;; [unrolled: 15-line block ×5, first 2 shown]
	v_cmp_eq_u32_e32 vcc_lo, 0, v0
	s_waitcnt lgkmcnt(0)
	s_barrier
	buffer_gl0_inv
	s_and_saveexec_b32 s1, vcc_lo
	s_cbranch_execz .LBB53_60
; %bb.59:
	v_mov_b32_e32 v4, 0
	ds_read_b128 v[0:3], v4
	s_waitcnt lgkmcnt(0)
	v_cmp_lt_f64_e64 s0, v[0:1], v[2:3]
	v_cndmask_b32_e64 v1, v1, v3, s0
	v_cndmask_b32_e64 v0, v0, v2, s0
	ds_write_b64 v4, v[0:1]
.LBB53_60:
	s_or_b32 exec_lo, exec_lo, s1
	s_waitcnt lgkmcnt(0)
	s_barrier
	buffer_gl0_inv
	s_and_saveexec_b32 s0, vcc_lo
	s_cbranch_execz .LBB53_64
; %bb.61:
	v_mbcnt_lo_u32_b32 v0, exec_lo, 0
	s_mov_b32 s6, 0
	v_cmp_eq_u32_e32 vcc_lo, 0, v0
	s_and_b32 exec_lo, exec_lo, vcc_lo
	s_cbranch_execz .LBB53_64
; %bb.62:
	s_load_dwordx4 s[0:3], s[4:5], 0x88
	v_mov_b32_e32 v6, 0
	ds_read_b64 v[0:1], v6
	s_waitcnt lgkmcnt(0)
	s_load_dwordx2 s[2:3], s[2:3], 0x0
	s_waitcnt lgkmcnt(0)
	v_div_scale_f64 v[2:3], null, s[2:3], s[2:3], v[0:1]
	v_rcp_f64_e32 v[4:5], v[2:3]
	v_fma_f64 v[7:8], -v[2:3], v[4:5], 1.0
	v_fma_f64 v[4:5], v[4:5], v[7:8], v[4:5]
	v_fma_f64 v[7:8], -v[2:3], v[4:5], 1.0
	v_fma_f64 v[4:5], v[4:5], v[7:8], v[4:5]
	v_div_scale_f64 v[7:8], vcc_lo, v[0:1], s[2:3], v[0:1]
	v_mul_f64 v[9:10], v[7:8], v[4:5]
	v_fma_f64 v[2:3], -v[2:3], v[9:10], v[7:8]
	v_div_fmas_f64 v[2:3], v[2:3], v[4:5], v[9:10]
	v_div_fixup_f64 v[0:1], v[2:3], s[2:3], v[0:1]
	s_load_dwordx2 s[2:3], s[0:1], 0x0
	s_waitcnt lgkmcnt(0)
	v_mov_b32_e32 v2, s2
	v_max_f64 v[4:5], v[0:1], v[0:1]
	v_mov_b32_e32 v3, s3
.LBB53_63:                              ; =>This Inner Loop Header: Depth=1
	v_max_f64 v[0:1], v[2:3], v[2:3]
	v_max_f64 v[0:1], v[0:1], v[4:5]
	global_atomic_cmpswap_x2 v[0:1], v6, v[0:3], s[0:1] glc
	s_waitcnt vmcnt(0)
	v_cmp_eq_u64_e32 vcc_lo, v[0:1], v[2:3]
	v_mov_b32_e32 v3, v1
	v_mov_b32_e32 v2, v0
	s_or_b32 s6, vcc_lo, s6
	s_andn2_b32 exec_lo, exec_lo, s6
	s_cbranch_execnz .LBB53_63
.LBB53_64:
	s_endpgm
	.section	.rodata,"a",@progbits
	.p2align	6, 0x0
	.amdhsa_kernel _ZN9rocsparseL19kernel_nrm_residualILi1024ELi16E21rocsparse_complex_numIdEiiEEvT3_T2_PKS4_S6_PKS3_PKT1_21rocsparse_index_base_S6_S6_S8_SB_SC_S6_S6_S8_SB_SC_SB_PNS_15floating_traitsIS9_E6data_tEPKSF_
		.amdhsa_group_segment_fixed_size 512
		.amdhsa_private_segment_fixed_size 0
		.amdhsa_kernarg_size 152
		.amdhsa_user_sgpr_count 6
		.amdhsa_user_sgpr_private_segment_buffer 1
		.amdhsa_user_sgpr_dispatch_ptr 0
		.amdhsa_user_sgpr_queue_ptr 0
		.amdhsa_user_sgpr_kernarg_segment_ptr 1
		.amdhsa_user_sgpr_dispatch_id 0
		.amdhsa_user_sgpr_flat_scratch_init 0
		.amdhsa_user_sgpr_private_segment_size 0
		.amdhsa_wavefront_size32 1
		.amdhsa_uses_dynamic_stack 0
		.amdhsa_system_sgpr_private_segment_wavefront_offset 0
		.amdhsa_system_sgpr_workgroup_id_x 1
		.amdhsa_system_sgpr_workgroup_id_y 0
		.amdhsa_system_sgpr_workgroup_id_z 0
		.amdhsa_system_sgpr_workgroup_info 0
		.amdhsa_system_vgpr_workitem_id 0
		.amdhsa_next_free_vgpr 42
		.amdhsa_next_free_sgpr 49
		.amdhsa_reserve_vcc 1
		.amdhsa_reserve_flat_scratch 0
		.amdhsa_float_round_mode_32 0
		.amdhsa_float_round_mode_16_64 0
		.amdhsa_float_denorm_mode_32 3
		.amdhsa_float_denorm_mode_16_64 3
		.amdhsa_dx10_clamp 1
		.amdhsa_ieee_mode 1
		.amdhsa_fp16_overflow 0
		.amdhsa_workgroup_processor_mode 1
		.amdhsa_memory_ordered 1
		.amdhsa_forward_progress 1
		.amdhsa_shared_vgpr_count 0
		.amdhsa_exception_fp_ieee_invalid_op 0
		.amdhsa_exception_fp_denorm_src 0
		.amdhsa_exception_fp_ieee_div_zero 0
		.amdhsa_exception_fp_ieee_overflow 0
		.amdhsa_exception_fp_ieee_underflow 0
		.amdhsa_exception_fp_ieee_inexact 0
		.amdhsa_exception_int_div_zero 0
	.end_amdhsa_kernel
	.section	.text._ZN9rocsparseL19kernel_nrm_residualILi1024ELi16E21rocsparse_complex_numIdEiiEEvT3_T2_PKS4_S6_PKS3_PKT1_21rocsparse_index_base_S6_S6_S8_SB_SC_S6_S6_S8_SB_SC_SB_PNS_15floating_traitsIS9_E6data_tEPKSF_,"axG",@progbits,_ZN9rocsparseL19kernel_nrm_residualILi1024ELi16E21rocsparse_complex_numIdEiiEEvT3_T2_PKS4_S6_PKS3_PKT1_21rocsparse_index_base_S6_S6_S8_SB_SC_S6_S6_S8_SB_SC_SB_PNS_15floating_traitsIS9_E6data_tEPKSF_,comdat
.Lfunc_end53:
	.size	_ZN9rocsparseL19kernel_nrm_residualILi1024ELi16E21rocsparse_complex_numIdEiiEEvT3_T2_PKS4_S6_PKS3_PKT1_21rocsparse_index_base_S6_S6_S8_SB_SC_S6_S6_S8_SB_SC_SB_PNS_15floating_traitsIS9_E6data_tEPKSF_, .Lfunc_end53-_ZN9rocsparseL19kernel_nrm_residualILi1024ELi16E21rocsparse_complex_numIdEiiEEvT3_T2_PKS4_S6_PKS3_PKT1_21rocsparse_index_base_S6_S6_S8_SB_SC_S6_S6_S8_SB_SC_SB_PNS_15floating_traitsIS9_E6data_tEPKSF_
                                        ; -- End function
	.set _ZN9rocsparseL19kernel_nrm_residualILi1024ELi16E21rocsparse_complex_numIdEiiEEvT3_T2_PKS4_S6_PKS3_PKT1_21rocsparse_index_base_S6_S6_S8_SB_SC_S6_S6_S8_SB_SC_SB_PNS_15floating_traitsIS9_E6data_tEPKSF_.num_vgpr, 42
	.set _ZN9rocsparseL19kernel_nrm_residualILi1024ELi16E21rocsparse_complex_numIdEiiEEvT3_T2_PKS4_S6_PKS3_PKT1_21rocsparse_index_base_S6_S6_S8_SB_SC_S6_S6_S8_SB_SC_SB_PNS_15floating_traitsIS9_E6data_tEPKSF_.num_agpr, 0
	.set _ZN9rocsparseL19kernel_nrm_residualILi1024ELi16E21rocsparse_complex_numIdEiiEEvT3_T2_PKS4_S6_PKS3_PKT1_21rocsparse_index_base_S6_S6_S8_SB_SC_S6_S6_S8_SB_SC_SB_PNS_15floating_traitsIS9_E6data_tEPKSF_.numbered_sgpr, 49
	.set _ZN9rocsparseL19kernel_nrm_residualILi1024ELi16E21rocsparse_complex_numIdEiiEEvT3_T2_PKS4_S6_PKS3_PKT1_21rocsparse_index_base_S6_S6_S8_SB_SC_S6_S6_S8_SB_SC_SB_PNS_15floating_traitsIS9_E6data_tEPKSF_.num_named_barrier, 0
	.set _ZN9rocsparseL19kernel_nrm_residualILi1024ELi16E21rocsparse_complex_numIdEiiEEvT3_T2_PKS4_S6_PKS3_PKT1_21rocsparse_index_base_S6_S6_S8_SB_SC_S6_S6_S8_SB_SC_SB_PNS_15floating_traitsIS9_E6data_tEPKSF_.private_seg_size, 0
	.set _ZN9rocsparseL19kernel_nrm_residualILi1024ELi16E21rocsparse_complex_numIdEiiEEvT3_T2_PKS4_S6_PKS3_PKT1_21rocsparse_index_base_S6_S6_S8_SB_SC_S6_S6_S8_SB_SC_SB_PNS_15floating_traitsIS9_E6data_tEPKSF_.uses_vcc, 1
	.set _ZN9rocsparseL19kernel_nrm_residualILi1024ELi16E21rocsparse_complex_numIdEiiEEvT3_T2_PKS4_S6_PKS3_PKT1_21rocsparse_index_base_S6_S6_S8_SB_SC_S6_S6_S8_SB_SC_SB_PNS_15floating_traitsIS9_E6data_tEPKSF_.uses_flat_scratch, 0
	.set _ZN9rocsparseL19kernel_nrm_residualILi1024ELi16E21rocsparse_complex_numIdEiiEEvT3_T2_PKS4_S6_PKS3_PKT1_21rocsparse_index_base_S6_S6_S8_SB_SC_S6_S6_S8_SB_SC_SB_PNS_15floating_traitsIS9_E6data_tEPKSF_.has_dyn_sized_stack, 0
	.set _ZN9rocsparseL19kernel_nrm_residualILi1024ELi16E21rocsparse_complex_numIdEiiEEvT3_T2_PKS4_S6_PKS3_PKT1_21rocsparse_index_base_S6_S6_S8_SB_SC_S6_S6_S8_SB_SC_SB_PNS_15floating_traitsIS9_E6data_tEPKSF_.has_recursion, 0
	.set _ZN9rocsparseL19kernel_nrm_residualILi1024ELi16E21rocsparse_complex_numIdEiiEEvT3_T2_PKS4_S6_PKS3_PKT1_21rocsparse_index_base_S6_S6_S8_SB_SC_S6_S6_S8_SB_SC_SB_PNS_15floating_traitsIS9_E6data_tEPKSF_.has_indirect_call, 0
	.section	.AMDGPU.csdata,"",@progbits
; Kernel info:
; codeLenInByte = 3268
; TotalNumSgprs: 51
; NumVgprs: 42
; ScratchSize: 0
; MemoryBound: 1
; FloatMode: 240
; IeeeMode: 1
; LDSByteSize: 512 bytes/workgroup (compile time only)
; SGPRBlocks: 0
; VGPRBlocks: 5
; NumSGPRsForWavesPerEU: 51
; NumVGPRsForWavesPerEU: 42
; Occupancy: 16
; WaveLimiterHint : 1
; COMPUTE_PGM_RSRC2:SCRATCH_EN: 0
; COMPUTE_PGM_RSRC2:USER_SGPR: 6
; COMPUTE_PGM_RSRC2:TRAP_HANDLER: 0
; COMPUTE_PGM_RSRC2:TGID_X_EN: 1
; COMPUTE_PGM_RSRC2:TGID_Y_EN: 0
; COMPUTE_PGM_RSRC2:TGID_Z_EN: 0
; COMPUTE_PGM_RSRC2:TIDIG_COMP_CNT: 0
	.section	.text._ZN9rocsparseL19kernel_nrm_residualILi1024ELi32E21rocsparse_complex_numIdEiiEEvT3_T2_PKS4_S6_PKS3_PKT1_21rocsparse_index_base_S6_S6_S8_SB_SC_S6_S6_S8_SB_SC_SB_PNS_15floating_traitsIS9_E6data_tEPKSF_,"axG",@progbits,_ZN9rocsparseL19kernel_nrm_residualILi1024ELi32E21rocsparse_complex_numIdEiiEEvT3_T2_PKS4_S6_PKS3_PKT1_21rocsparse_index_base_S6_S6_S8_SB_SC_S6_S6_S8_SB_SC_SB_PNS_15floating_traitsIS9_E6data_tEPKSF_,comdat
	.globl	_ZN9rocsparseL19kernel_nrm_residualILi1024ELi32E21rocsparse_complex_numIdEiiEEvT3_T2_PKS4_S6_PKS3_PKT1_21rocsparse_index_base_S6_S6_S8_SB_SC_S6_S6_S8_SB_SC_SB_PNS_15floating_traitsIS9_E6data_tEPKSF_ ; -- Begin function _ZN9rocsparseL19kernel_nrm_residualILi1024ELi32E21rocsparse_complex_numIdEiiEEvT3_T2_PKS4_S6_PKS3_PKT1_21rocsparse_index_base_S6_S6_S8_SB_SC_S6_S6_S8_SB_SC_SB_PNS_15floating_traitsIS9_E6data_tEPKSF_
	.p2align	8
	.type	_ZN9rocsparseL19kernel_nrm_residualILi1024ELi32E21rocsparse_complex_numIdEiiEEvT3_T2_PKS4_S6_PKS3_PKT1_21rocsparse_index_base_S6_S6_S8_SB_SC_S6_S6_S8_SB_SC_SB_PNS_15floating_traitsIS9_E6data_tEPKSF_,@function
_ZN9rocsparseL19kernel_nrm_residualILi1024ELi32E21rocsparse_complex_numIdEiiEEvT3_T2_PKS4_S6_PKS3_PKT1_21rocsparse_index_base_S6_S6_S8_SB_SC_S6_S6_S8_SB_SC_SB_PNS_15floating_traitsIS9_E6data_tEPKSF_: ; @_ZN9rocsparseL19kernel_nrm_residualILi1024ELi32E21rocsparse_complex_numIdEiiEEvT3_T2_PKS4_S6_PKS3_PKT1_21rocsparse_index_base_S6_S6_S8_SB_SC_S6_S6_S8_SB_SC_SB_PNS_15floating_traitsIS9_E6data_tEPKSF_
; %bb.0:
	s_load_dword s7, s[4:5], 0x0
	v_lshrrev_b32_e32 v20, 5, v0
	s_lshl_b32 s34, s6, 10
	v_mov_b32_e32 v3, 0
	v_and_b32_e32 v21, 31, v0
	v_mov_b32_e32 v4, 0
	v_or_b32_e32 v1, s34, v20
	s_mov_b32 s6, exec_lo
	s_waitcnt lgkmcnt(0)
	v_cmpx_gt_i32_e64 s7, v1
	s_cbranch_execz .LBB54_46
; %bb.1:
	v_mov_b32_e32 v3, 0
	v_mov_b32_e32 v4, 0
	s_addk_i32 s34, 0x400
	s_mov_b32 s33, exec_lo
	v_cmpx_gt_u32_e64 s34, v1
	s_cbranch_execz .LBB54_45
; %bb.2:
	s_clause 0x6
	s_load_dword s35, s[4:5], 0x28
	s_load_dwordx8 s[8:15], s[4:5], 0x58
	s_load_dwordx8 s[16:23], s[4:5], 0x30
	;; [unrolled: 1-line block ×3, first 2 shown]
	s_load_dword s36, s[4:5], 0x50
	s_load_dwordx2 s[2:3], s[4:5], 0x80
	s_load_dword s37, s[4:5], 0x78
	v_mov_b32_e32 v3, 0
	v_mov_b32_e32 v4, 0
	;; [unrolled: 1-line block ×3, first 2 shown]
	s_mov_b32 s38, 0
	s_waitcnt lgkmcnt(0)
	v_subrev_nc_u32_e32 v22, s35, v21
	s_branch .LBB54_6
.LBB54_3:                               ;   in Loop: Header=BB54_6 Depth=1
	s_or_b32 exec_lo, exec_lo, s41
.LBB54_4:                               ;   in Loop: Header=BB54_6 Depth=1
	s_or_b32 exec_lo, exec_lo, s40
.LBB54_5:                               ;   in Loop: Header=BB54_6 Depth=1
	s_or_b32 exec_lo, exec_lo, s39
	v_add_nc_u32_e32 v1, 32, v1
	v_cmp_le_u32_e32 vcc_lo, s34, v1
	s_or_b32 s38, vcc_lo, s38
	s_andn2_b32 exec_lo, exec_lo, s38
	s_cbranch_execz .LBB54_44
.LBB54_6:                               ; =>This Loop Header: Depth=1
                                        ;     Child Loop BB54_10 Depth 2
                                        ;       Child Loop BB54_14 Depth 3
                                        ;       Child Loop BB54_31 Depth 3
	;; [unrolled: 1-line block ×3, first 2 shown]
	s_mov_b32 s39, exec_lo
	v_cmpx_gt_i32_e64 s7, v1
	s_cbranch_execz .LBB54_5
; %bb.7:                                ;   in Loop: Header=BB54_6 Depth=1
	v_ashrrev_i32_e32 v2, 31, v1
	s_mov_b32 s40, exec_lo
	v_lshlrev_b64 v[8:9], 2, v[1:2]
	v_add_co_u32 v10, vcc_lo, s24, v8
	v_add_co_ci_u32_e64 v11, null, s25, v9, vcc_lo
	v_add_co_u32 v12, vcc_lo, s26, v8
	v_add_co_ci_u32_e64 v13, null, s27, v9, vcc_lo
	global_load_dword v2, v[10:11], off
	global_load_dword v5, v[12:13], off
	s_waitcnt vmcnt(1)
	v_add_nc_u32_e32 v7, v22, v2
	s_waitcnt vmcnt(0)
	v_subrev_nc_u32_e32 v2, s35, v5
	v_cmpx_lt_i32_e64 v7, v2
	s_cbranch_execz .LBB54_4
; %bb.8:                                ;   in Loop: Header=BB54_6 Depth=1
	v_add_co_u32 v10, vcc_lo, s16, v8
	v_add_co_ci_u32_e64 v11, null, s17, v9, vcc_lo
	v_add_co_u32 v8, vcc_lo, s18, v8
	v_add_co_ci_u32_e64 v9, null, s19, v9, vcc_lo
	global_load_dword v5, v[10:11], off
	s_mov_b32 s41, 0
	global_load_dword v8, v[8:9], off
	s_waitcnt vmcnt(1)
	v_subrev_nc_u32_e32 v9, s36, v5
	s_waitcnt vmcnt(0)
	v_sub_nc_u32_e32 v23, v8, v5
	v_ashrrev_i32_e32 v10, 31, v9
	v_cmp_lt_i32_e64 s0, 0, v23
	v_lshlrev_b64 v[11:12], 2, v[9:10]
	v_lshlrev_b64 v[13:14], 4, v[9:10]
	v_add_co_u32 v24, vcc_lo, s20, v11
	v_add_co_ci_u32_e64 v25, null, s21, v12, vcc_lo
	v_add_co_u32 v26, vcc_lo, s22, v13
	v_add_co_ci_u32_e64 v27, null, s23, v14, vcc_lo
	s_branch .LBB54_10
.LBB54_9:                               ;   in Loop: Header=BB54_10 Depth=2
	s_or_b32 exec_lo, exec_lo, s1
	v_cmp_nlg_f64_e64 s42, 0x7ff00000, |v[14:15]|
	v_cmp_gt_f64_e32 vcc_lo, v[3:4], v[14:15]
	v_add_nc_u32_e32 v7, 32, v7
	v_cmp_ge_i32_e64 s1, v7, v2
	s_or_b32 vcc_lo, s42, vcc_lo
	s_or_b32 s41, s1, s41
	v_cndmask_b32_e32 v4, v15, v4, vcc_lo
	v_cndmask_b32_e32 v3, v14, v3, vcc_lo
	s_andn2_b32 exec_lo, exec_lo, s41
	s_cbranch_execz .LBB54_3
.LBB54_10:                              ;   Parent Loop BB54_6 Depth=1
                                        ; =>  This Loop Header: Depth=2
                                        ;       Child Loop BB54_14 Depth 3
                                        ;       Child Loop BB54_31 Depth 3
	;; [unrolled: 1-line block ×3, first 2 shown]
	v_ashrrev_i32_e32 v8, 31, v7
	v_lshlrev_b64 v[10:11], 2, v[7:8]
	v_add_co_u32 v10, vcc_lo, s28, v10
	v_add_co_ci_u32_e64 v11, null, s29, v11, vcc_lo
	global_load_dword v5, v[10:11], off
	s_waitcnt vmcnt(0)
	v_subrev_nc_u32_e32 v10, s35, v5
	v_mov_b32_e32 v5, 0
	v_ashrrev_i32_e32 v11, 31, v10
	v_lshlrev_b64 v[12:13], 2, v[10:11]
	v_add_co_u32 v14, vcc_lo, s8, v12
	v_add_co_ci_u32_e64 v15, null, s9, v13, vcc_lo
	v_add_co_u32 v12, vcc_lo, s10, v12
	v_add_co_ci_u32_e64 v13, null, s11, v13, vcc_lo
	global_load_dword v17, v[14:15], off
	global_load_dword v18, v[12:13], off
	v_mov_b32_e32 v12, 0
	v_mov_b32_e32 v14, 0
	;; [unrolled: 1-line block ×4, first 2 shown]
	s_waitcnt vmcnt(1)
	v_subrev_nc_u32_e32 v16, s37, v17
	s_waitcnt vmcnt(0)
	v_sub_nc_u32_e32 v28, v18, v17
	v_mov_b32_e32 v17, v5
	s_and_saveexec_b32 s42, s0
	s_cbranch_execz .LBB54_18
; %bb.11:                               ;   in Loop: Header=BB54_10 Depth=2
	v_ashrrev_i32_e32 v17, 31, v16
	v_mov_b32_e32 v12, 0
	v_mov_b32_e32 v13, 0
	;; [unrolled: 1-line block ×3, first 2 shown]
	s_mov_b32 s43, 0
	v_lshlrev_b64 v[14:15], 2, v[16:17]
	v_lshlrev_b64 v[17:18], 4, v[16:17]
                                        ; implicit-def: $sgpr44
	v_add_co_u32 v19, vcc_lo, s12, v14
	v_add_co_ci_u32_e64 v29, null, s13, v15, vcc_lo
	v_add_co_u32 v30, vcc_lo, s14, v17
	v_mov_b32_e32 v14, 0
	v_add_co_ci_u32_e64 v31, null, s15, v18, vcc_lo
	v_mov_b32_e32 v17, 0
	v_mov_b32_e32 v15, 0
	s_branch .LBB54_14
.LBB54_12:                              ;   in Loop: Header=BB54_14 Depth=3
	s_or_b32 exec_lo, exec_lo, s1
	v_cmp_le_i32_e32 vcc_lo, v32, v33
	v_cmp_ge_i32_e64 s1, v32, v33
	v_add_co_ci_u32_e64 v5, null, 0, v5, vcc_lo
	v_add_co_ci_u32_e64 v17, null, 0, v17, s1
	s_andn2_b32 s1, s44, exec_lo
	v_cmp_ge_i32_e32 vcc_lo, v5, v23
	s_and_b32 s44, vcc_lo, exec_lo
	s_or_b32 s44, s1, s44
.LBB54_13:                              ;   in Loop: Header=BB54_14 Depth=3
	s_or_b32 exec_lo, exec_lo, s45
	s_and_b32 s1, exec_lo, s44
	s_or_b32 s43, s1, s43
	s_andn2_b32 exec_lo, exec_lo, s43
	s_cbranch_execz .LBB54_17
.LBB54_14:                              ;   Parent Loop BB54_6 Depth=1
                                        ;     Parent Loop BB54_10 Depth=2
                                        ; =>    This Inner Loop Header: Depth=3
	s_or_b32 s44, s44, exec_lo
	s_mov_b32 s45, exec_lo
	v_cmpx_lt_i32_e64 v17, v28
	s_cbranch_execz .LBB54_13
; %bb.15:                               ;   in Loop: Header=BB54_14 Depth=3
	v_mov_b32_e32 v18, v6
	v_lshlrev_b64 v[32:33], 2, v[5:6]
	s_mov_b32 s1, exec_lo
	v_lshlrev_b64 v[34:35], 2, v[17:18]
	v_add_co_u32 v32, vcc_lo, v24, v32
	v_add_co_ci_u32_e64 v33, null, v25, v33, vcc_lo
	v_add_co_u32 v34, vcc_lo, v19, v34
	v_add_co_ci_u32_e64 v35, null, v29, v35, vcc_lo
	global_load_dword v32, v[32:33], off
	global_load_dword v33, v[34:35], off
	s_waitcnt vmcnt(1)
	v_subrev_nc_u32_e32 v32, s36, v32
	s_waitcnt vmcnt(0)
	v_subrev_nc_u32_e32 v33, s37, v33
	v_cmpx_eq_u32_e64 v32, v33
	s_cbranch_execz .LBB54_12
; %bb.16:                               ;   in Loop: Header=BB54_14 Depth=3
	v_lshlrev_b64 v[34:35], 4, v[5:6]
	v_lshlrev_b64 v[36:37], 4, v[17:18]
	v_add_co_u32 v34, vcc_lo, v26, v34
	v_add_co_ci_u32_e64 v35, null, v27, v35, vcc_lo
	v_add_co_u32 v38, vcc_lo, v30, v36
	v_add_co_ci_u32_e64 v39, null, v31, v37, vcc_lo
	global_load_dwordx4 v[34:37], v[34:35], off
	global_load_dwordx4 v[38:41], v[38:39], off
	s_waitcnt vmcnt(0)
	v_fma_f64 v[12:13], v[34:35], v[38:39], v[12:13]
	v_fma_f64 v[14:15], v[36:37], v[38:39], v[14:15]
	v_fma_f64 v[12:13], -v[36:37], v[40:41], v[12:13]
	v_fma_f64 v[14:15], v[34:35], v[40:41], v[14:15]
	s_branch .LBB54_12
.LBB54_17:                              ;   in Loop: Header=BB54_10 Depth=2
	s_or_b32 exec_lo, exec_lo, s43
.LBB54_18:                              ;   in Loop: Header=BB54_10 Depth=2
	s_or_b32 exec_lo, exec_lo, s42
	s_mov_b32 s1, exec_lo
	v_cmpx_ge_i32_e64 v17, v28
	s_xor_b32 s1, exec_lo, s1
	s_cbranch_execnz .LBB54_28
; %bb.19:                               ;   in Loop: Header=BB54_10 Depth=2
	s_andn2_saveexec_b32 s1, s1
	s_cbranch_execnz .LBB54_37
.LBB54_20:                              ;   in Loop: Header=BB54_10 Depth=2
	s_or_b32 exec_lo, exec_lo, s1
	s_mov_b32 s1, exec_lo
	v_cmpx_eq_u32_e64 v1, v10
	s_cbranch_execz .LBB54_22
.LBB54_21:                              ;   in Loop: Header=BB54_10 Depth=2
	v_lshlrev_b64 v[10:11], 4, v[10:11]
	v_add_co_u32 v10, vcc_lo, s2, v10
	v_add_co_ci_u32_e64 v11, null, s3, v11, vcc_lo
	global_load_dwordx4 v[16:19], v[10:11], off
	s_waitcnt vmcnt(0)
	v_add_f64 v[12:13], v[12:13], v[16:17]
	v_add_f64 v[14:15], v[14:15], v[18:19]
.LBB54_22:                              ;   in Loop: Header=BB54_10 Depth=2
	s_or_b32 exec_lo, exec_lo, s1
	v_lshlrev_b64 v[10:11], 4, v[7:8]
	s_mov_b32 s1, exec_lo
	v_add_co_u32 v10, vcc_lo, s30, v10
	v_add_co_ci_u32_e64 v11, null, s31, v11, vcc_lo
	global_load_dwordx4 v[16:19], v[10:11], off
	s_waitcnt vmcnt(0)
	v_add_f64 v[10:11], v[16:17], -v[12:13]
	v_add_f64 v[16:17], v[18:19], -v[14:15]
                                        ; implicit-def: $vgpr14_vgpr15
	v_cmp_gt_f64_e32 vcc_lo, 0, v[10:11]
	v_xor_b32_e32 v5, 0x80000000, v11
	v_xor_b32_e32 v8, 0x80000000, v17
	v_mov_b32_e32 v12, v16
	v_cndmask_b32_e32 v11, v11, v5, vcc_lo
	v_cmp_gt_f64_e32 vcc_lo, 0, v[16:17]
	v_cndmask_b32_e32 v13, v17, v8, vcc_lo
	v_cmpx_ngt_f64_e32 v[10:11], v[12:13]
	s_xor_b32 s1, exec_lo, s1
	s_cbranch_execz .LBB54_26
; %bb.23:                               ;   in Loop: Header=BB54_10 Depth=2
	v_mov_b32_e32 v14, 0
	v_mov_b32_e32 v15, 0
	s_mov_b32 s42, exec_lo
	v_cmpx_neq_f64_e32 0, v[16:17]
	s_cbranch_execz .LBB54_25
; %bb.24:                               ;   in Loop: Header=BB54_10 Depth=2
	v_div_scale_f64 v[14:15], null, v[12:13], v[12:13], v[10:11]
	v_div_scale_f64 v[28:29], vcc_lo, v[10:11], v[12:13], v[10:11]
	v_rcp_f64_e32 v[16:17], v[14:15]
	v_fma_f64 v[18:19], -v[14:15], v[16:17], 1.0
	v_fma_f64 v[16:17], v[16:17], v[18:19], v[16:17]
	v_fma_f64 v[18:19], -v[14:15], v[16:17], 1.0
	v_fma_f64 v[16:17], v[16:17], v[18:19], v[16:17]
	v_mul_f64 v[18:19], v[28:29], v[16:17]
	v_fma_f64 v[14:15], -v[14:15], v[18:19], v[28:29]
	v_div_fmas_f64 v[14:15], v[14:15], v[16:17], v[18:19]
	v_div_fixup_f64 v[10:11], v[14:15], v[12:13], v[10:11]
	v_fma_f64 v[10:11], v[10:11], v[10:11], 1.0
	v_cmp_gt_f64_e32 vcc_lo, 0x10000000, v[10:11]
	v_cndmask_b32_e64 v5, 0, 0x100, vcc_lo
	v_ldexp_f64 v[10:11], v[10:11], v5
	v_cndmask_b32_e64 v5, 0, 0xffffff80, vcc_lo
	v_rsq_f64_e32 v[14:15], v[10:11]
	v_cmp_class_f64_e64 vcc_lo, v[10:11], 0x260
	v_mul_f64 v[16:17], v[10:11], v[14:15]
	v_mul_f64 v[14:15], v[14:15], 0.5
	v_fma_f64 v[18:19], -v[14:15], v[16:17], 0.5
	v_fma_f64 v[16:17], v[16:17], v[18:19], v[16:17]
	v_fma_f64 v[14:15], v[14:15], v[18:19], v[14:15]
	v_fma_f64 v[18:19], -v[16:17], v[16:17], v[10:11]
	v_fma_f64 v[16:17], v[18:19], v[14:15], v[16:17]
	v_fma_f64 v[18:19], -v[16:17], v[16:17], v[10:11]
	v_fma_f64 v[14:15], v[18:19], v[14:15], v[16:17]
	v_ldexp_f64 v[14:15], v[14:15], v5
	v_cndmask_b32_e32 v11, v15, v11, vcc_lo
	v_cndmask_b32_e32 v10, v14, v10, vcc_lo
	v_mul_f64 v[14:15], v[12:13], v[10:11]
.LBB54_25:                              ;   in Loop: Header=BB54_10 Depth=2
	s_or_b32 exec_lo, exec_lo, s42
                                        ; implicit-def: $vgpr10_vgpr11
                                        ; implicit-def: $vgpr12_vgpr13
.LBB54_26:                              ;   in Loop: Header=BB54_10 Depth=2
	s_andn2_saveexec_b32 s1, s1
	s_cbranch_execz .LBB54_9
; %bb.27:                               ;   in Loop: Header=BB54_10 Depth=2
	v_div_scale_f64 v[14:15], null, v[10:11], v[10:11], v[12:13]
	v_div_scale_f64 v[28:29], vcc_lo, v[12:13], v[10:11], v[12:13]
	v_rcp_f64_e32 v[16:17], v[14:15]
	v_fma_f64 v[18:19], -v[14:15], v[16:17], 1.0
	v_fma_f64 v[16:17], v[16:17], v[18:19], v[16:17]
	v_fma_f64 v[18:19], -v[14:15], v[16:17], 1.0
	v_fma_f64 v[16:17], v[16:17], v[18:19], v[16:17]
	v_mul_f64 v[18:19], v[28:29], v[16:17]
	v_fma_f64 v[14:15], -v[14:15], v[18:19], v[28:29]
	v_div_fmas_f64 v[14:15], v[14:15], v[16:17], v[18:19]
	v_div_fixup_f64 v[12:13], v[14:15], v[10:11], v[12:13]
	v_fma_f64 v[12:13], v[12:13], v[12:13], 1.0
	v_cmp_gt_f64_e32 vcc_lo, 0x10000000, v[12:13]
	v_cndmask_b32_e64 v5, 0, 0x100, vcc_lo
	v_ldexp_f64 v[12:13], v[12:13], v5
	v_cndmask_b32_e64 v5, 0, 0xffffff80, vcc_lo
	v_rsq_f64_e32 v[14:15], v[12:13]
	v_cmp_class_f64_e64 vcc_lo, v[12:13], 0x260
	v_mul_f64 v[16:17], v[12:13], v[14:15]
	v_mul_f64 v[14:15], v[14:15], 0.5
	v_fma_f64 v[18:19], -v[14:15], v[16:17], 0.5
	v_fma_f64 v[16:17], v[16:17], v[18:19], v[16:17]
	v_fma_f64 v[14:15], v[14:15], v[18:19], v[14:15]
	v_fma_f64 v[18:19], -v[16:17], v[16:17], v[12:13]
	v_fma_f64 v[16:17], v[18:19], v[14:15], v[16:17]
	v_fma_f64 v[18:19], -v[16:17], v[16:17], v[12:13]
	v_fma_f64 v[14:15], v[18:19], v[14:15], v[16:17]
	v_ldexp_f64 v[14:15], v[14:15], v5
	v_cndmask_b32_e32 v13, v15, v13, vcc_lo
	v_cndmask_b32_e32 v12, v14, v12, vcc_lo
	v_mul_f64 v[14:15], v[10:11], v[12:13]
	s_branch .LBB54_9
.LBB54_28:                              ;   in Loop: Header=BB54_10 Depth=2
	s_mov_b32 s42, exec_lo
	v_cmpx_lt_i32_e64 v5, v23
	s_cbranch_execz .LBB54_36
; %bb.29:                               ;   in Loop: Header=BB54_10 Depth=2
	s_mov_b32 s44, 0
                                        ; implicit-def: $sgpr43
                                        ; implicit-def: $sgpr46
                                        ; implicit-def: $sgpr45
	s_inst_prefetch 0x1
	s_branch .LBB54_31
	.p2align	6
.LBB54_30:                              ;   in Loop: Header=BB54_31 Depth=3
	s_or_b32 exec_lo, exec_lo, s47
	s_and_b32 s47, exec_lo, s46
	s_or_b32 s44, s47, s44
	s_andn2_b32 s43, s43, exec_lo
	s_and_b32 s47, s45, exec_lo
	s_or_b32 s43, s43, s47
	s_andn2_b32 exec_lo, exec_lo, s44
	s_cbranch_execz .LBB54_33
.LBB54_31:                              ;   Parent Loop BB54_6 Depth=1
                                        ;     Parent Loop BB54_10 Depth=2
                                        ; =>    This Inner Loop Header: Depth=3
	v_add_nc_u32_e32 v16, v9, v5
	s_or_b32 s45, s45, exec_lo
	s_or_b32 s46, s46, exec_lo
	s_mov_b32 s47, exec_lo
	v_ashrrev_i32_e32 v17, 31, v16
	v_lshlrev_b64 v[18:19], 2, v[16:17]
	v_add_co_u32 v18, vcc_lo, s20, v18
	v_add_co_ci_u32_e64 v19, null, s21, v19, vcc_lo
	global_load_dword v18, v[18:19], off
	s_waitcnt vmcnt(0)
	v_subrev_nc_u32_e32 v18, s36, v18
	v_cmpx_ne_u32_e64 v18, v10
	s_cbranch_execz .LBB54_30
; %bb.32:                               ;   in Loop: Header=BB54_31 Depth=3
	v_add_nc_u32_e32 v5, 1, v5
	s_andn2_b32 s46, s46, exec_lo
	s_andn2_b32 s45, s45, exec_lo
	v_cmp_ge_i32_e32 vcc_lo, v5, v23
	s_and_b32 s48, vcc_lo, exec_lo
	s_or_b32 s46, s46, s48
	s_branch .LBB54_30
.LBB54_33:                              ;   in Loop: Header=BB54_10 Depth=2
	s_inst_prefetch 0x2
	s_or_b32 exec_lo, exec_lo, s44
	s_and_saveexec_b32 s44, s43
	s_xor_b32 s43, exec_lo, s44
	s_cbranch_execz .LBB54_35
; %bb.34:                               ;   in Loop: Header=BB54_10 Depth=2
	v_lshlrev_b64 v[18:19], 4, v[10:11]
	v_lshlrev_b64 v[16:17], 4, v[16:17]
	v_add_co_u32 v18, vcc_lo, s2, v18
	v_add_co_ci_u32_e64 v19, null, s3, v19, vcc_lo
	v_add_co_u32 v28, vcc_lo, s22, v16
	v_add_co_ci_u32_e64 v29, null, s23, v17, vcc_lo
	global_load_dwordx4 v[16:19], v[18:19], off
	global_load_dwordx4 v[28:31], v[28:29], off
	s_waitcnt vmcnt(0)
	v_mul_f64 v[32:33], v[18:19], -v[30:31]
	v_mul_f64 v[18:19], v[18:19], v[28:29]
	v_fma_f64 v[28:29], v[28:29], v[16:17], v[32:33]
	v_fma_f64 v[16:17], v[30:31], v[16:17], v[18:19]
	v_add_f64 v[12:13], v[12:13], v[28:29]
	v_add_f64 v[14:15], v[14:15], v[16:17]
.LBB54_35:                              ;   in Loop: Header=BB54_10 Depth=2
	s_or_b32 exec_lo, exec_lo, s43
.LBB54_36:                              ;   in Loop: Header=BB54_10 Depth=2
	s_or_b32 exec_lo, exec_lo, s42
                                        ; implicit-def: $vgpr17
                                        ; implicit-def: $vgpr16
                                        ; implicit-def: $vgpr28
	s_andn2_saveexec_b32 s1, s1
	s_cbranch_execz .LBB54_20
.LBB54_37:                              ;   in Loop: Header=BB54_10 Depth=2
	s_mov_b32 s43, 0
                                        ; implicit-def: $sgpr42
                                        ; implicit-def: $sgpr45
                                        ; implicit-def: $sgpr44
	s_inst_prefetch 0x1
	s_branch .LBB54_39
	.p2align	6
.LBB54_38:                              ;   in Loop: Header=BB54_39 Depth=3
	s_or_b32 exec_lo, exec_lo, s46
	s_and_b32 s46, exec_lo, s45
	s_or_b32 s43, s46, s43
	s_andn2_b32 s42, s42, exec_lo
	s_and_b32 s46, s44, exec_lo
	s_or_b32 s42, s42, s46
	s_andn2_b32 exec_lo, exec_lo, s43
	s_cbranch_execz .LBB54_41
.LBB54_39:                              ;   Parent Loop BB54_6 Depth=1
                                        ;     Parent Loop BB54_10 Depth=2
                                        ; =>    This Inner Loop Header: Depth=3
	v_add_nc_u32_e32 v18, v16, v17
	s_or_b32 s44, s44, exec_lo
	s_or_b32 s45, s45, exec_lo
	s_mov_b32 s46, exec_lo
	v_ashrrev_i32_e32 v19, 31, v18
	v_lshlrev_b64 v[29:30], 2, v[18:19]
	v_add_co_u32 v29, vcc_lo, s12, v29
	v_add_co_ci_u32_e64 v30, null, s13, v30, vcc_lo
	global_load_dword v5, v[29:30], off
	s_waitcnt vmcnt(0)
	v_subrev_nc_u32_e32 v5, s37, v5
	v_cmpx_ne_u32_e64 v5, v1
	s_cbranch_execz .LBB54_38
; %bb.40:                               ;   in Loop: Header=BB54_39 Depth=3
	v_add_nc_u32_e32 v17, 1, v17
	s_andn2_b32 s45, s45, exec_lo
	s_andn2_b32 s44, s44, exec_lo
	v_cmp_ge_i32_e32 vcc_lo, v17, v28
	s_and_b32 s47, vcc_lo, exec_lo
	s_or_b32 s45, s45, s47
	s_branch .LBB54_38
.LBB54_41:                              ;   in Loop: Header=BB54_10 Depth=2
	s_inst_prefetch 0x2
	s_or_b32 exec_lo, exec_lo, s43
	s_and_saveexec_b32 s43, s42
	s_xor_b32 s42, exec_lo, s43
	s_cbranch_execz .LBB54_43
; %bb.42:                               ;   in Loop: Header=BB54_10 Depth=2
	v_lshlrev_b64 v[16:17], 4, v[18:19]
	v_add_co_u32 v16, vcc_lo, s14, v16
	v_add_co_ci_u32_e64 v17, null, s15, v17, vcc_lo
	global_load_dwordx4 v[16:19], v[16:17], off
	s_waitcnt vmcnt(0)
	v_add_f64 v[12:13], v[12:13], v[16:17]
	v_add_f64 v[14:15], v[14:15], v[18:19]
.LBB54_43:                              ;   in Loop: Header=BB54_10 Depth=2
	s_or_b32 exec_lo, exec_lo, s42
	s_or_b32 exec_lo, exec_lo, s1
	s_mov_b32 s1, exec_lo
	v_cmpx_eq_u32_e64 v1, v10
	s_cbranch_execnz .LBB54_21
	s_branch .LBB54_22
.LBB54_44:
	s_or_b32 exec_lo, exec_lo, s38
.LBB54_45:
	s_or_b32 exec_lo, exec_lo, s33
.LBB54_46:
	s_or_b32 exec_lo, exec_lo, s6
	v_mbcnt_lo_u32_b32 v5, -1, 0
	v_xor_b32_e32 v1, 16, v5
	v_xor_b32_e32 v6, 8, v5
	v_cmp_gt_i32_e32 vcc_lo, 32, v1
	v_cmp_gt_i32_e64 s0, 32, v6
	v_cndmask_b32_e32 v1, v5, v1, vcc_lo
	v_cndmask_b32_e64 v6, v5, v6, s0
	v_lshlrev_b32_e32 v2, 2, v1
	v_lshlrev_b32_e32 v6, 2, v6
	ds_bpermute_b32 v1, v2, v3
	ds_bpermute_b32 v2, v2, v4
	s_waitcnt lgkmcnt(0)
	v_cmp_lt_f64_e32 vcc_lo, v[3:4], v[1:2]
	v_cndmask_b32_e32 v2, v4, v2, vcc_lo
	v_cndmask_b32_e32 v1, v3, v1, vcc_lo
	ds_bpermute_b32 v4, v6, v2
	ds_bpermute_b32 v3, v6, v1
	v_xor_b32_e32 v6, 4, v5
	v_cmp_gt_i32_e64 s0, 32, v6
	v_cndmask_b32_e64 v6, v5, v6, s0
	v_lshlrev_b32_e32 v6, 2, v6
	s_waitcnt lgkmcnt(0)
	v_cmp_lt_f64_e32 vcc_lo, v[1:2], v[3:4]
	v_cndmask_b32_e32 v2, v2, v4, vcc_lo
	v_cndmask_b32_e32 v1, v1, v3, vcc_lo
	ds_bpermute_b32 v4, v6, v2
	ds_bpermute_b32 v3, v6, v1
	v_xor_b32_e32 v6, 2, v5
	v_cmp_gt_i32_e64 s0, 32, v6
	v_cndmask_b32_e64 v6, v5, v6, s0
	v_lshlrev_b32_e32 v6, 2, v6
	s_waitcnt lgkmcnt(0)
	v_cmp_lt_f64_e32 vcc_lo, v[1:2], v[3:4]
	v_cndmask_b32_e32 v2, v2, v4, vcc_lo
	v_cndmask_b32_e32 v1, v1, v3, vcc_lo
	ds_bpermute_b32 v4, v6, v2
	ds_bpermute_b32 v3, v6, v1
	v_xor_b32_e32 v6, 1, v5
	v_cmp_gt_i32_e64 s0, 32, v6
	v_cndmask_b32_e64 v5, v5, v6, s0
	s_mov_b32 s0, exec_lo
	v_lshlrev_b32_e32 v5, 2, v5
	s_waitcnt lgkmcnt(0)
	v_cmp_lt_f64_e32 vcc_lo, v[1:2], v[3:4]
	v_cndmask_b32_e32 v2, v2, v4, vcc_lo
	v_cndmask_b32_e32 v1, v1, v3, vcc_lo
	ds_bpermute_b32 v3, v5, v1
	ds_bpermute_b32 v5, v5, v2
	v_cmpx_eq_u32_e32 31, v21
	s_cbranch_execz .LBB54_48
; %bb.47:
	s_waitcnt lgkmcnt(0)
	v_mov_b32_e32 v4, v5
	v_cmp_lt_f64_e32 vcc_lo, v[1:2], v[3:4]
	v_lshlrev_b32_e32 v4, 3, v20
	v_cndmask_b32_e32 v2, v2, v5, vcc_lo
	v_cndmask_b32_e32 v1, v1, v3, vcc_lo
	ds_write_b64 v4, v[1:2]
.LBB54_48:
	s_or_b32 exec_lo, exec_lo, s0
	v_lshlrev_b32_e32 v1, 3, v0
	s_mov_b32 s0, exec_lo
	s_waitcnt lgkmcnt(0)
	s_barrier
	buffer_gl0_inv
	v_cmpx_gt_u32_e32 16, v0
	s_cbranch_execz .LBB54_50
; %bb.49:
	ds_read2_b64 v[2:5], v1 offset1:16
	s_waitcnt lgkmcnt(0)
	v_cmp_lt_f64_e32 vcc_lo, v[2:3], v[4:5]
	v_cndmask_b32_e32 v3, v3, v5, vcc_lo
	v_cndmask_b32_e32 v2, v2, v4, vcc_lo
	ds_write_b64 v1, v[2:3]
.LBB54_50:
	s_or_b32 exec_lo, exec_lo, s0
	s_mov_b32 s0, exec_lo
	s_waitcnt lgkmcnt(0)
	s_barrier
	buffer_gl0_inv
	v_cmpx_gt_u32_e32 8, v0
	s_cbranch_execz .LBB54_52
; %bb.51:
	ds_read2_b64 v[2:5], v1 offset1:8
	s_waitcnt lgkmcnt(0)
	v_cmp_lt_f64_e32 vcc_lo, v[2:3], v[4:5]
	v_cndmask_b32_e32 v3, v3, v5, vcc_lo
	v_cndmask_b32_e32 v2, v2, v4, vcc_lo
	ds_write_b64 v1, v[2:3]
.LBB54_52:
	s_or_b32 exec_lo, exec_lo, s0
	;; [unrolled: 15-line block ×4, first 2 shown]
	v_cmp_eq_u32_e32 vcc_lo, 0, v0
	s_waitcnt lgkmcnt(0)
	s_barrier
	buffer_gl0_inv
	s_and_saveexec_b32 s1, vcc_lo
	s_cbranch_execz .LBB54_58
; %bb.57:
	v_mov_b32_e32 v4, 0
	ds_read_b128 v[0:3], v4
	s_waitcnt lgkmcnt(0)
	v_cmp_lt_f64_e64 s0, v[0:1], v[2:3]
	v_cndmask_b32_e64 v1, v1, v3, s0
	v_cndmask_b32_e64 v0, v0, v2, s0
	ds_write_b64 v4, v[0:1]
.LBB54_58:
	s_or_b32 exec_lo, exec_lo, s1
	s_waitcnt lgkmcnt(0)
	s_barrier
	buffer_gl0_inv
	s_and_saveexec_b32 s0, vcc_lo
	s_cbranch_execz .LBB54_62
; %bb.59:
	v_mbcnt_lo_u32_b32 v0, exec_lo, 0
	s_mov_b32 s6, 0
	v_cmp_eq_u32_e32 vcc_lo, 0, v0
	s_and_b32 exec_lo, exec_lo, vcc_lo
	s_cbranch_execz .LBB54_62
; %bb.60:
	s_load_dwordx4 s[0:3], s[4:5], 0x88
	v_mov_b32_e32 v6, 0
	ds_read_b64 v[0:1], v6
	s_waitcnt lgkmcnt(0)
	s_load_dwordx2 s[2:3], s[2:3], 0x0
	s_waitcnt lgkmcnt(0)
	v_div_scale_f64 v[2:3], null, s[2:3], s[2:3], v[0:1]
	v_rcp_f64_e32 v[4:5], v[2:3]
	v_fma_f64 v[7:8], -v[2:3], v[4:5], 1.0
	v_fma_f64 v[4:5], v[4:5], v[7:8], v[4:5]
	v_fma_f64 v[7:8], -v[2:3], v[4:5], 1.0
	v_fma_f64 v[4:5], v[4:5], v[7:8], v[4:5]
	v_div_scale_f64 v[7:8], vcc_lo, v[0:1], s[2:3], v[0:1]
	v_mul_f64 v[9:10], v[7:8], v[4:5]
	v_fma_f64 v[2:3], -v[2:3], v[9:10], v[7:8]
	v_div_fmas_f64 v[2:3], v[2:3], v[4:5], v[9:10]
	v_div_fixup_f64 v[0:1], v[2:3], s[2:3], v[0:1]
	s_load_dwordx2 s[2:3], s[0:1], 0x0
	s_waitcnt lgkmcnt(0)
	v_mov_b32_e32 v2, s2
	v_max_f64 v[4:5], v[0:1], v[0:1]
	v_mov_b32_e32 v3, s3
.LBB54_61:                              ; =>This Inner Loop Header: Depth=1
	v_max_f64 v[0:1], v[2:3], v[2:3]
	v_max_f64 v[0:1], v[0:1], v[4:5]
	global_atomic_cmpswap_x2 v[0:1], v6, v[0:3], s[0:1] glc
	s_waitcnt vmcnt(0)
	v_cmp_eq_u64_e32 vcc_lo, v[0:1], v[2:3]
	v_mov_b32_e32 v3, v1
	v_mov_b32_e32 v2, v0
	s_or_b32 s6, vcc_lo, s6
	s_andn2_b32 exec_lo, exec_lo, s6
	s_cbranch_execnz .LBB54_61
.LBB54_62:
	s_endpgm
	.section	.rodata,"a",@progbits
	.p2align	6, 0x0
	.amdhsa_kernel _ZN9rocsparseL19kernel_nrm_residualILi1024ELi32E21rocsparse_complex_numIdEiiEEvT3_T2_PKS4_S6_PKS3_PKT1_21rocsparse_index_base_S6_S6_S8_SB_SC_S6_S6_S8_SB_SC_SB_PNS_15floating_traitsIS9_E6data_tEPKSF_
		.amdhsa_group_segment_fixed_size 256
		.amdhsa_private_segment_fixed_size 0
		.amdhsa_kernarg_size 152
		.amdhsa_user_sgpr_count 6
		.amdhsa_user_sgpr_private_segment_buffer 1
		.amdhsa_user_sgpr_dispatch_ptr 0
		.amdhsa_user_sgpr_queue_ptr 0
		.amdhsa_user_sgpr_kernarg_segment_ptr 1
		.amdhsa_user_sgpr_dispatch_id 0
		.amdhsa_user_sgpr_flat_scratch_init 0
		.amdhsa_user_sgpr_private_segment_size 0
		.amdhsa_wavefront_size32 1
		.amdhsa_uses_dynamic_stack 0
		.amdhsa_system_sgpr_private_segment_wavefront_offset 0
		.amdhsa_system_sgpr_workgroup_id_x 1
		.amdhsa_system_sgpr_workgroup_id_y 0
		.amdhsa_system_sgpr_workgroup_id_z 0
		.amdhsa_system_sgpr_workgroup_info 0
		.amdhsa_system_vgpr_workitem_id 0
		.amdhsa_next_free_vgpr 42
		.amdhsa_next_free_sgpr 49
		.amdhsa_reserve_vcc 1
		.amdhsa_reserve_flat_scratch 0
		.amdhsa_float_round_mode_32 0
		.amdhsa_float_round_mode_16_64 0
		.amdhsa_float_denorm_mode_32 3
		.amdhsa_float_denorm_mode_16_64 3
		.amdhsa_dx10_clamp 1
		.amdhsa_ieee_mode 1
		.amdhsa_fp16_overflow 0
		.amdhsa_workgroup_processor_mode 1
		.amdhsa_memory_ordered 1
		.amdhsa_forward_progress 1
		.amdhsa_shared_vgpr_count 0
		.amdhsa_exception_fp_ieee_invalid_op 0
		.amdhsa_exception_fp_denorm_src 0
		.amdhsa_exception_fp_ieee_div_zero 0
		.amdhsa_exception_fp_ieee_overflow 0
		.amdhsa_exception_fp_ieee_underflow 0
		.amdhsa_exception_fp_ieee_inexact 0
		.amdhsa_exception_int_div_zero 0
	.end_amdhsa_kernel
	.section	.text._ZN9rocsparseL19kernel_nrm_residualILi1024ELi32E21rocsparse_complex_numIdEiiEEvT3_T2_PKS4_S6_PKS3_PKT1_21rocsparse_index_base_S6_S6_S8_SB_SC_S6_S6_S8_SB_SC_SB_PNS_15floating_traitsIS9_E6data_tEPKSF_,"axG",@progbits,_ZN9rocsparseL19kernel_nrm_residualILi1024ELi32E21rocsparse_complex_numIdEiiEEvT3_T2_PKS4_S6_PKS3_PKT1_21rocsparse_index_base_S6_S6_S8_SB_SC_S6_S6_S8_SB_SC_SB_PNS_15floating_traitsIS9_E6data_tEPKSF_,comdat
.Lfunc_end54:
	.size	_ZN9rocsparseL19kernel_nrm_residualILi1024ELi32E21rocsparse_complex_numIdEiiEEvT3_T2_PKS4_S6_PKS3_PKT1_21rocsparse_index_base_S6_S6_S8_SB_SC_S6_S6_S8_SB_SC_SB_PNS_15floating_traitsIS9_E6data_tEPKSF_, .Lfunc_end54-_ZN9rocsparseL19kernel_nrm_residualILi1024ELi32E21rocsparse_complex_numIdEiiEEvT3_T2_PKS4_S6_PKS3_PKT1_21rocsparse_index_base_S6_S6_S8_SB_SC_S6_S6_S8_SB_SC_SB_PNS_15floating_traitsIS9_E6data_tEPKSF_
                                        ; -- End function
	.set _ZN9rocsparseL19kernel_nrm_residualILi1024ELi32E21rocsparse_complex_numIdEiiEEvT3_T2_PKS4_S6_PKS3_PKT1_21rocsparse_index_base_S6_S6_S8_SB_SC_S6_S6_S8_SB_SC_SB_PNS_15floating_traitsIS9_E6data_tEPKSF_.num_vgpr, 42
	.set _ZN9rocsparseL19kernel_nrm_residualILi1024ELi32E21rocsparse_complex_numIdEiiEEvT3_T2_PKS4_S6_PKS3_PKT1_21rocsparse_index_base_S6_S6_S8_SB_SC_S6_S6_S8_SB_SC_SB_PNS_15floating_traitsIS9_E6data_tEPKSF_.num_agpr, 0
	.set _ZN9rocsparseL19kernel_nrm_residualILi1024ELi32E21rocsparse_complex_numIdEiiEEvT3_T2_PKS4_S6_PKS3_PKT1_21rocsparse_index_base_S6_S6_S8_SB_SC_S6_S6_S8_SB_SC_SB_PNS_15floating_traitsIS9_E6data_tEPKSF_.numbered_sgpr, 49
	.set _ZN9rocsparseL19kernel_nrm_residualILi1024ELi32E21rocsparse_complex_numIdEiiEEvT3_T2_PKS4_S6_PKS3_PKT1_21rocsparse_index_base_S6_S6_S8_SB_SC_S6_S6_S8_SB_SC_SB_PNS_15floating_traitsIS9_E6data_tEPKSF_.num_named_barrier, 0
	.set _ZN9rocsparseL19kernel_nrm_residualILi1024ELi32E21rocsparse_complex_numIdEiiEEvT3_T2_PKS4_S6_PKS3_PKT1_21rocsparse_index_base_S6_S6_S8_SB_SC_S6_S6_S8_SB_SC_SB_PNS_15floating_traitsIS9_E6data_tEPKSF_.private_seg_size, 0
	.set _ZN9rocsparseL19kernel_nrm_residualILi1024ELi32E21rocsparse_complex_numIdEiiEEvT3_T2_PKS4_S6_PKS3_PKT1_21rocsparse_index_base_S6_S6_S8_SB_SC_S6_S6_S8_SB_SC_SB_PNS_15floating_traitsIS9_E6data_tEPKSF_.uses_vcc, 1
	.set _ZN9rocsparseL19kernel_nrm_residualILi1024ELi32E21rocsparse_complex_numIdEiiEEvT3_T2_PKS4_S6_PKS3_PKT1_21rocsparse_index_base_S6_S6_S8_SB_SC_S6_S6_S8_SB_SC_SB_PNS_15floating_traitsIS9_E6data_tEPKSF_.uses_flat_scratch, 0
	.set _ZN9rocsparseL19kernel_nrm_residualILi1024ELi32E21rocsparse_complex_numIdEiiEEvT3_T2_PKS4_S6_PKS3_PKT1_21rocsparse_index_base_S6_S6_S8_SB_SC_S6_S6_S8_SB_SC_SB_PNS_15floating_traitsIS9_E6data_tEPKSF_.has_dyn_sized_stack, 0
	.set _ZN9rocsparseL19kernel_nrm_residualILi1024ELi32E21rocsparse_complex_numIdEiiEEvT3_T2_PKS4_S6_PKS3_PKT1_21rocsparse_index_base_S6_S6_S8_SB_SC_S6_S6_S8_SB_SC_SB_PNS_15floating_traitsIS9_E6data_tEPKSF_.has_recursion, 0
	.set _ZN9rocsparseL19kernel_nrm_residualILi1024ELi32E21rocsparse_complex_numIdEiiEEvT3_T2_PKS4_S6_PKS3_PKT1_21rocsparse_index_base_S6_S6_S8_SB_SC_S6_S6_S8_SB_SC_SB_PNS_15floating_traitsIS9_E6data_tEPKSF_.has_indirect_call, 0
	.section	.AMDGPU.csdata,"",@progbits
; Kernel info:
; codeLenInByte = 3260
; TotalNumSgprs: 51
; NumVgprs: 42
; ScratchSize: 0
; MemoryBound: 1
; FloatMode: 240
; IeeeMode: 1
; LDSByteSize: 256 bytes/workgroup (compile time only)
; SGPRBlocks: 0
; VGPRBlocks: 5
; NumSGPRsForWavesPerEU: 51
; NumVGPRsForWavesPerEU: 42
; Occupancy: 16
; WaveLimiterHint : 1
; COMPUTE_PGM_RSRC2:SCRATCH_EN: 0
; COMPUTE_PGM_RSRC2:USER_SGPR: 6
; COMPUTE_PGM_RSRC2:TRAP_HANDLER: 0
; COMPUTE_PGM_RSRC2:TGID_X_EN: 1
; COMPUTE_PGM_RSRC2:TGID_Y_EN: 0
; COMPUTE_PGM_RSRC2:TGID_Z_EN: 0
; COMPUTE_PGM_RSRC2:TIDIG_COMP_CNT: 0
	.section	.text._ZN9rocsparseL19kernel_nrm_residualILi1024ELi64E21rocsparse_complex_numIdEiiEEvT3_T2_PKS4_S6_PKS3_PKT1_21rocsparse_index_base_S6_S6_S8_SB_SC_S6_S6_S8_SB_SC_SB_PNS_15floating_traitsIS9_E6data_tEPKSF_,"axG",@progbits,_ZN9rocsparseL19kernel_nrm_residualILi1024ELi64E21rocsparse_complex_numIdEiiEEvT3_T2_PKS4_S6_PKS3_PKT1_21rocsparse_index_base_S6_S6_S8_SB_SC_S6_S6_S8_SB_SC_SB_PNS_15floating_traitsIS9_E6data_tEPKSF_,comdat
	.globl	_ZN9rocsparseL19kernel_nrm_residualILi1024ELi64E21rocsparse_complex_numIdEiiEEvT3_T2_PKS4_S6_PKS3_PKT1_21rocsparse_index_base_S6_S6_S8_SB_SC_S6_S6_S8_SB_SC_SB_PNS_15floating_traitsIS9_E6data_tEPKSF_ ; -- Begin function _ZN9rocsparseL19kernel_nrm_residualILi1024ELi64E21rocsparse_complex_numIdEiiEEvT3_T2_PKS4_S6_PKS3_PKT1_21rocsparse_index_base_S6_S6_S8_SB_SC_S6_S6_S8_SB_SC_SB_PNS_15floating_traitsIS9_E6data_tEPKSF_
	.p2align	8
	.type	_ZN9rocsparseL19kernel_nrm_residualILi1024ELi64E21rocsparse_complex_numIdEiiEEvT3_T2_PKS4_S6_PKS3_PKT1_21rocsparse_index_base_S6_S6_S8_SB_SC_S6_S6_S8_SB_SC_SB_PNS_15floating_traitsIS9_E6data_tEPKSF_,@function
_ZN9rocsparseL19kernel_nrm_residualILi1024ELi64E21rocsparse_complex_numIdEiiEEvT3_T2_PKS4_S6_PKS3_PKT1_21rocsparse_index_base_S6_S6_S8_SB_SC_S6_S6_S8_SB_SC_SB_PNS_15floating_traitsIS9_E6data_tEPKSF_: ; @_ZN9rocsparseL19kernel_nrm_residualILi1024ELi64E21rocsparse_complex_numIdEiiEEvT3_T2_PKS4_S6_PKS3_PKT1_21rocsparse_index_base_S6_S6_S8_SB_SC_S6_S6_S8_SB_SC_SB_PNS_15floating_traitsIS9_E6data_tEPKSF_
; %bb.0:
	s_load_dword s7, s[4:5], 0x0
	v_lshrrev_b32_e32 v20, 6, v0
	s_lshl_b32 s34, s6, 10
	v_mov_b32_e32 v3, 0
	v_and_b32_e32 v21, 63, v0
	v_mov_b32_e32 v4, 0
	v_or_b32_e32 v1, s34, v20
	s_mov_b32 s6, exec_lo
	s_waitcnt lgkmcnt(0)
	v_cmpx_gt_i32_e64 s7, v1
	s_cbranch_execz .LBB55_46
; %bb.1:
	v_mov_b32_e32 v3, 0
	v_mov_b32_e32 v4, 0
	s_addk_i32 s34, 0x400
	s_mov_b32 s33, exec_lo
	v_cmpx_gt_u32_e64 s34, v1
	s_cbranch_execz .LBB55_45
; %bb.2:
	s_clause 0x6
	s_load_dword s35, s[4:5], 0x28
	s_load_dwordx8 s[8:15], s[4:5], 0x58
	s_load_dwordx8 s[16:23], s[4:5], 0x30
	;; [unrolled: 1-line block ×3, first 2 shown]
	s_load_dword s36, s[4:5], 0x50
	s_load_dwordx2 s[2:3], s[4:5], 0x80
	s_load_dword s37, s[4:5], 0x78
	v_mov_b32_e32 v3, 0
	v_mov_b32_e32 v4, 0
	;; [unrolled: 1-line block ×3, first 2 shown]
	s_mov_b32 s38, 0
	s_waitcnt lgkmcnt(0)
	v_subrev_nc_u32_e32 v22, s35, v21
	s_branch .LBB55_6
.LBB55_3:                               ;   in Loop: Header=BB55_6 Depth=1
	s_or_b32 exec_lo, exec_lo, s41
.LBB55_4:                               ;   in Loop: Header=BB55_6 Depth=1
	s_or_b32 exec_lo, exec_lo, s40
.LBB55_5:                               ;   in Loop: Header=BB55_6 Depth=1
	s_or_b32 exec_lo, exec_lo, s39
	v_add_nc_u32_e32 v1, 16, v1
	v_cmp_le_u32_e32 vcc_lo, s34, v1
	s_or_b32 s38, vcc_lo, s38
	s_andn2_b32 exec_lo, exec_lo, s38
	s_cbranch_execz .LBB55_44
.LBB55_6:                               ; =>This Loop Header: Depth=1
                                        ;     Child Loop BB55_10 Depth 2
                                        ;       Child Loop BB55_14 Depth 3
                                        ;       Child Loop BB55_31 Depth 3
	;; [unrolled: 1-line block ×3, first 2 shown]
	s_mov_b32 s39, exec_lo
	v_cmpx_gt_i32_e64 s7, v1
	s_cbranch_execz .LBB55_5
; %bb.7:                                ;   in Loop: Header=BB55_6 Depth=1
	v_ashrrev_i32_e32 v2, 31, v1
	s_mov_b32 s40, exec_lo
	v_lshlrev_b64 v[8:9], 2, v[1:2]
	v_add_co_u32 v10, vcc_lo, s24, v8
	v_add_co_ci_u32_e64 v11, null, s25, v9, vcc_lo
	v_add_co_u32 v12, vcc_lo, s26, v8
	v_add_co_ci_u32_e64 v13, null, s27, v9, vcc_lo
	global_load_dword v2, v[10:11], off
	global_load_dword v5, v[12:13], off
	s_waitcnt vmcnt(1)
	v_add_nc_u32_e32 v7, v22, v2
	s_waitcnt vmcnt(0)
	v_subrev_nc_u32_e32 v2, s35, v5
	v_cmpx_lt_i32_e64 v7, v2
	s_cbranch_execz .LBB55_4
; %bb.8:                                ;   in Loop: Header=BB55_6 Depth=1
	v_add_co_u32 v10, vcc_lo, s16, v8
	v_add_co_ci_u32_e64 v11, null, s17, v9, vcc_lo
	v_add_co_u32 v8, vcc_lo, s18, v8
	v_add_co_ci_u32_e64 v9, null, s19, v9, vcc_lo
	global_load_dword v5, v[10:11], off
	s_mov_b32 s41, 0
	global_load_dword v8, v[8:9], off
	s_waitcnt vmcnt(1)
	v_subrev_nc_u32_e32 v9, s36, v5
	s_waitcnt vmcnt(0)
	v_sub_nc_u32_e32 v23, v8, v5
	v_ashrrev_i32_e32 v10, 31, v9
	v_cmp_lt_i32_e64 s0, 0, v23
	v_lshlrev_b64 v[11:12], 2, v[9:10]
	v_lshlrev_b64 v[13:14], 4, v[9:10]
	v_add_co_u32 v24, vcc_lo, s20, v11
	v_add_co_ci_u32_e64 v25, null, s21, v12, vcc_lo
	v_add_co_u32 v26, vcc_lo, s22, v13
	v_add_co_ci_u32_e64 v27, null, s23, v14, vcc_lo
	s_branch .LBB55_10
.LBB55_9:                               ;   in Loop: Header=BB55_10 Depth=2
	s_or_b32 exec_lo, exec_lo, s1
	v_cmp_nlg_f64_e64 s42, 0x7ff00000, |v[14:15]|
	v_cmp_gt_f64_e32 vcc_lo, v[3:4], v[14:15]
	v_add_nc_u32_e32 v7, 64, v7
	v_cmp_ge_i32_e64 s1, v7, v2
	s_or_b32 vcc_lo, s42, vcc_lo
	s_or_b32 s41, s1, s41
	v_cndmask_b32_e32 v4, v15, v4, vcc_lo
	v_cndmask_b32_e32 v3, v14, v3, vcc_lo
	s_andn2_b32 exec_lo, exec_lo, s41
	s_cbranch_execz .LBB55_3
.LBB55_10:                              ;   Parent Loop BB55_6 Depth=1
                                        ; =>  This Loop Header: Depth=2
                                        ;       Child Loop BB55_14 Depth 3
                                        ;       Child Loop BB55_31 Depth 3
	;; [unrolled: 1-line block ×3, first 2 shown]
	v_ashrrev_i32_e32 v8, 31, v7
	v_lshlrev_b64 v[10:11], 2, v[7:8]
	v_add_co_u32 v10, vcc_lo, s28, v10
	v_add_co_ci_u32_e64 v11, null, s29, v11, vcc_lo
	global_load_dword v5, v[10:11], off
	s_waitcnt vmcnt(0)
	v_subrev_nc_u32_e32 v10, s35, v5
	v_mov_b32_e32 v5, 0
	v_ashrrev_i32_e32 v11, 31, v10
	v_lshlrev_b64 v[12:13], 2, v[10:11]
	v_add_co_u32 v14, vcc_lo, s8, v12
	v_add_co_ci_u32_e64 v15, null, s9, v13, vcc_lo
	v_add_co_u32 v12, vcc_lo, s10, v12
	v_add_co_ci_u32_e64 v13, null, s11, v13, vcc_lo
	global_load_dword v17, v[14:15], off
	global_load_dword v18, v[12:13], off
	v_mov_b32_e32 v12, 0
	v_mov_b32_e32 v14, 0
	;; [unrolled: 1-line block ×4, first 2 shown]
	s_waitcnt vmcnt(1)
	v_subrev_nc_u32_e32 v16, s37, v17
	s_waitcnt vmcnt(0)
	v_sub_nc_u32_e32 v28, v18, v17
	v_mov_b32_e32 v17, v5
	s_and_saveexec_b32 s42, s0
	s_cbranch_execz .LBB55_18
; %bb.11:                               ;   in Loop: Header=BB55_10 Depth=2
	v_ashrrev_i32_e32 v17, 31, v16
	v_mov_b32_e32 v12, 0
	v_mov_b32_e32 v13, 0
	;; [unrolled: 1-line block ×3, first 2 shown]
	s_mov_b32 s43, 0
	v_lshlrev_b64 v[14:15], 2, v[16:17]
	v_lshlrev_b64 v[17:18], 4, v[16:17]
                                        ; implicit-def: $sgpr44
	v_add_co_u32 v19, vcc_lo, s12, v14
	v_add_co_ci_u32_e64 v29, null, s13, v15, vcc_lo
	v_add_co_u32 v30, vcc_lo, s14, v17
	v_mov_b32_e32 v14, 0
	v_add_co_ci_u32_e64 v31, null, s15, v18, vcc_lo
	v_mov_b32_e32 v17, 0
	v_mov_b32_e32 v15, 0
	s_branch .LBB55_14
.LBB55_12:                              ;   in Loop: Header=BB55_14 Depth=3
	s_or_b32 exec_lo, exec_lo, s1
	v_cmp_le_i32_e32 vcc_lo, v32, v33
	v_cmp_ge_i32_e64 s1, v32, v33
	v_add_co_ci_u32_e64 v5, null, 0, v5, vcc_lo
	v_add_co_ci_u32_e64 v17, null, 0, v17, s1
	s_andn2_b32 s1, s44, exec_lo
	v_cmp_ge_i32_e32 vcc_lo, v5, v23
	s_and_b32 s44, vcc_lo, exec_lo
	s_or_b32 s44, s1, s44
.LBB55_13:                              ;   in Loop: Header=BB55_14 Depth=3
	s_or_b32 exec_lo, exec_lo, s45
	s_and_b32 s1, exec_lo, s44
	s_or_b32 s43, s1, s43
	s_andn2_b32 exec_lo, exec_lo, s43
	s_cbranch_execz .LBB55_17
.LBB55_14:                              ;   Parent Loop BB55_6 Depth=1
                                        ;     Parent Loop BB55_10 Depth=2
                                        ; =>    This Inner Loop Header: Depth=3
	s_or_b32 s44, s44, exec_lo
	s_mov_b32 s45, exec_lo
	v_cmpx_lt_i32_e64 v17, v28
	s_cbranch_execz .LBB55_13
; %bb.15:                               ;   in Loop: Header=BB55_14 Depth=3
	v_mov_b32_e32 v18, v6
	v_lshlrev_b64 v[32:33], 2, v[5:6]
	s_mov_b32 s1, exec_lo
	v_lshlrev_b64 v[34:35], 2, v[17:18]
	v_add_co_u32 v32, vcc_lo, v24, v32
	v_add_co_ci_u32_e64 v33, null, v25, v33, vcc_lo
	v_add_co_u32 v34, vcc_lo, v19, v34
	v_add_co_ci_u32_e64 v35, null, v29, v35, vcc_lo
	global_load_dword v32, v[32:33], off
	global_load_dword v33, v[34:35], off
	s_waitcnt vmcnt(1)
	v_subrev_nc_u32_e32 v32, s36, v32
	s_waitcnt vmcnt(0)
	v_subrev_nc_u32_e32 v33, s37, v33
	v_cmpx_eq_u32_e64 v32, v33
	s_cbranch_execz .LBB55_12
; %bb.16:                               ;   in Loop: Header=BB55_14 Depth=3
	v_lshlrev_b64 v[34:35], 4, v[5:6]
	v_lshlrev_b64 v[36:37], 4, v[17:18]
	v_add_co_u32 v34, vcc_lo, v26, v34
	v_add_co_ci_u32_e64 v35, null, v27, v35, vcc_lo
	v_add_co_u32 v38, vcc_lo, v30, v36
	v_add_co_ci_u32_e64 v39, null, v31, v37, vcc_lo
	global_load_dwordx4 v[34:37], v[34:35], off
	global_load_dwordx4 v[38:41], v[38:39], off
	s_waitcnt vmcnt(0)
	v_fma_f64 v[12:13], v[34:35], v[38:39], v[12:13]
	v_fma_f64 v[14:15], v[36:37], v[38:39], v[14:15]
	v_fma_f64 v[12:13], -v[36:37], v[40:41], v[12:13]
	v_fma_f64 v[14:15], v[34:35], v[40:41], v[14:15]
	s_branch .LBB55_12
.LBB55_17:                              ;   in Loop: Header=BB55_10 Depth=2
	s_or_b32 exec_lo, exec_lo, s43
.LBB55_18:                              ;   in Loop: Header=BB55_10 Depth=2
	s_or_b32 exec_lo, exec_lo, s42
	s_mov_b32 s1, exec_lo
	v_cmpx_ge_i32_e64 v17, v28
	s_xor_b32 s1, exec_lo, s1
	s_cbranch_execnz .LBB55_28
; %bb.19:                               ;   in Loop: Header=BB55_10 Depth=2
	s_andn2_saveexec_b32 s1, s1
	s_cbranch_execnz .LBB55_37
.LBB55_20:                              ;   in Loop: Header=BB55_10 Depth=2
	s_or_b32 exec_lo, exec_lo, s1
	s_mov_b32 s1, exec_lo
	v_cmpx_eq_u32_e64 v1, v10
	s_cbranch_execz .LBB55_22
.LBB55_21:                              ;   in Loop: Header=BB55_10 Depth=2
	v_lshlrev_b64 v[10:11], 4, v[10:11]
	v_add_co_u32 v10, vcc_lo, s2, v10
	v_add_co_ci_u32_e64 v11, null, s3, v11, vcc_lo
	global_load_dwordx4 v[16:19], v[10:11], off
	s_waitcnt vmcnt(0)
	v_add_f64 v[12:13], v[12:13], v[16:17]
	v_add_f64 v[14:15], v[14:15], v[18:19]
.LBB55_22:                              ;   in Loop: Header=BB55_10 Depth=2
	s_or_b32 exec_lo, exec_lo, s1
	v_lshlrev_b64 v[10:11], 4, v[7:8]
	s_mov_b32 s1, exec_lo
	v_add_co_u32 v10, vcc_lo, s30, v10
	v_add_co_ci_u32_e64 v11, null, s31, v11, vcc_lo
	global_load_dwordx4 v[16:19], v[10:11], off
	s_waitcnt vmcnt(0)
	v_add_f64 v[10:11], v[16:17], -v[12:13]
	v_add_f64 v[16:17], v[18:19], -v[14:15]
                                        ; implicit-def: $vgpr14_vgpr15
	v_cmp_gt_f64_e32 vcc_lo, 0, v[10:11]
	v_xor_b32_e32 v5, 0x80000000, v11
	v_xor_b32_e32 v8, 0x80000000, v17
	v_mov_b32_e32 v12, v16
	v_cndmask_b32_e32 v11, v11, v5, vcc_lo
	v_cmp_gt_f64_e32 vcc_lo, 0, v[16:17]
	v_cndmask_b32_e32 v13, v17, v8, vcc_lo
	v_cmpx_ngt_f64_e32 v[10:11], v[12:13]
	s_xor_b32 s1, exec_lo, s1
	s_cbranch_execz .LBB55_26
; %bb.23:                               ;   in Loop: Header=BB55_10 Depth=2
	v_mov_b32_e32 v14, 0
	v_mov_b32_e32 v15, 0
	s_mov_b32 s42, exec_lo
	v_cmpx_neq_f64_e32 0, v[16:17]
	s_cbranch_execz .LBB55_25
; %bb.24:                               ;   in Loop: Header=BB55_10 Depth=2
	v_div_scale_f64 v[14:15], null, v[12:13], v[12:13], v[10:11]
	v_div_scale_f64 v[28:29], vcc_lo, v[10:11], v[12:13], v[10:11]
	v_rcp_f64_e32 v[16:17], v[14:15]
	v_fma_f64 v[18:19], -v[14:15], v[16:17], 1.0
	v_fma_f64 v[16:17], v[16:17], v[18:19], v[16:17]
	v_fma_f64 v[18:19], -v[14:15], v[16:17], 1.0
	v_fma_f64 v[16:17], v[16:17], v[18:19], v[16:17]
	v_mul_f64 v[18:19], v[28:29], v[16:17]
	v_fma_f64 v[14:15], -v[14:15], v[18:19], v[28:29]
	v_div_fmas_f64 v[14:15], v[14:15], v[16:17], v[18:19]
	v_div_fixup_f64 v[10:11], v[14:15], v[12:13], v[10:11]
	v_fma_f64 v[10:11], v[10:11], v[10:11], 1.0
	v_cmp_gt_f64_e32 vcc_lo, 0x10000000, v[10:11]
	v_cndmask_b32_e64 v5, 0, 0x100, vcc_lo
	v_ldexp_f64 v[10:11], v[10:11], v5
	v_cndmask_b32_e64 v5, 0, 0xffffff80, vcc_lo
	v_rsq_f64_e32 v[14:15], v[10:11]
	v_cmp_class_f64_e64 vcc_lo, v[10:11], 0x260
	v_mul_f64 v[16:17], v[10:11], v[14:15]
	v_mul_f64 v[14:15], v[14:15], 0.5
	v_fma_f64 v[18:19], -v[14:15], v[16:17], 0.5
	v_fma_f64 v[16:17], v[16:17], v[18:19], v[16:17]
	v_fma_f64 v[14:15], v[14:15], v[18:19], v[14:15]
	v_fma_f64 v[18:19], -v[16:17], v[16:17], v[10:11]
	v_fma_f64 v[16:17], v[18:19], v[14:15], v[16:17]
	v_fma_f64 v[18:19], -v[16:17], v[16:17], v[10:11]
	v_fma_f64 v[14:15], v[18:19], v[14:15], v[16:17]
	v_ldexp_f64 v[14:15], v[14:15], v5
	v_cndmask_b32_e32 v11, v15, v11, vcc_lo
	v_cndmask_b32_e32 v10, v14, v10, vcc_lo
	v_mul_f64 v[14:15], v[12:13], v[10:11]
.LBB55_25:                              ;   in Loop: Header=BB55_10 Depth=2
	s_or_b32 exec_lo, exec_lo, s42
                                        ; implicit-def: $vgpr10_vgpr11
                                        ; implicit-def: $vgpr12_vgpr13
.LBB55_26:                              ;   in Loop: Header=BB55_10 Depth=2
	s_andn2_saveexec_b32 s1, s1
	s_cbranch_execz .LBB55_9
; %bb.27:                               ;   in Loop: Header=BB55_10 Depth=2
	v_div_scale_f64 v[14:15], null, v[10:11], v[10:11], v[12:13]
	v_div_scale_f64 v[28:29], vcc_lo, v[12:13], v[10:11], v[12:13]
	v_rcp_f64_e32 v[16:17], v[14:15]
	v_fma_f64 v[18:19], -v[14:15], v[16:17], 1.0
	v_fma_f64 v[16:17], v[16:17], v[18:19], v[16:17]
	v_fma_f64 v[18:19], -v[14:15], v[16:17], 1.0
	v_fma_f64 v[16:17], v[16:17], v[18:19], v[16:17]
	v_mul_f64 v[18:19], v[28:29], v[16:17]
	v_fma_f64 v[14:15], -v[14:15], v[18:19], v[28:29]
	v_div_fmas_f64 v[14:15], v[14:15], v[16:17], v[18:19]
	v_div_fixup_f64 v[12:13], v[14:15], v[10:11], v[12:13]
	v_fma_f64 v[12:13], v[12:13], v[12:13], 1.0
	v_cmp_gt_f64_e32 vcc_lo, 0x10000000, v[12:13]
	v_cndmask_b32_e64 v5, 0, 0x100, vcc_lo
	v_ldexp_f64 v[12:13], v[12:13], v5
	v_cndmask_b32_e64 v5, 0, 0xffffff80, vcc_lo
	v_rsq_f64_e32 v[14:15], v[12:13]
	v_cmp_class_f64_e64 vcc_lo, v[12:13], 0x260
	v_mul_f64 v[16:17], v[12:13], v[14:15]
	v_mul_f64 v[14:15], v[14:15], 0.5
	v_fma_f64 v[18:19], -v[14:15], v[16:17], 0.5
	v_fma_f64 v[16:17], v[16:17], v[18:19], v[16:17]
	v_fma_f64 v[14:15], v[14:15], v[18:19], v[14:15]
	v_fma_f64 v[18:19], -v[16:17], v[16:17], v[12:13]
	v_fma_f64 v[16:17], v[18:19], v[14:15], v[16:17]
	v_fma_f64 v[18:19], -v[16:17], v[16:17], v[12:13]
	v_fma_f64 v[14:15], v[18:19], v[14:15], v[16:17]
	v_ldexp_f64 v[14:15], v[14:15], v5
	v_cndmask_b32_e32 v13, v15, v13, vcc_lo
	v_cndmask_b32_e32 v12, v14, v12, vcc_lo
	v_mul_f64 v[14:15], v[10:11], v[12:13]
	s_branch .LBB55_9
.LBB55_28:                              ;   in Loop: Header=BB55_10 Depth=2
	s_mov_b32 s42, exec_lo
	v_cmpx_lt_i32_e64 v5, v23
	s_cbranch_execz .LBB55_36
; %bb.29:                               ;   in Loop: Header=BB55_10 Depth=2
	s_mov_b32 s44, 0
                                        ; implicit-def: $sgpr43
                                        ; implicit-def: $sgpr46
                                        ; implicit-def: $sgpr45
	s_inst_prefetch 0x1
	s_branch .LBB55_31
	.p2align	6
.LBB55_30:                              ;   in Loop: Header=BB55_31 Depth=3
	s_or_b32 exec_lo, exec_lo, s47
	s_and_b32 s47, exec_lo, s46
	s_or_b32 s44, s47, s44
	s_andn2_b32 s43, s43, exec_lo
	s_and_b32 s47, s45, exec_lo
	s_or_b32 s43, s43, s47
	s_andn2_b32 exec_lo, exec_lo, s44
	s_cbranch_execz .LBB55_33
.LBB55_31:                              ;   Parent Loop BB55_6 Depth=1
                                        ;     Parent Loop BB55_10 Depth=2
                                        ; =>    This Inner Loop Header: Depth=3
	v_add_nc_u32_e32 v16, v9, v5
	s_or_b32 s45, s45, exec_lo
	s_or_b32 s46, s46, exec_lo
	s_mov_b32 s47, exec_lo
	v_ashrrev_i32_e32 v17, 31, v16
	v_lshlrev_b64 v[18:19], 2, v[16:17]
	v_add_co_u32 v18, vcc_lo, s20, v18
	v_add_co_ci_u32_e64 v19, null, s21, v19, vcc_lo
	global_load_dword v18, v[18:19], off
	s_waitcnt vmcnt(0)
	v_subrev_nc_u32_e32 v18, s36, v18
	v_cmpx_ne_u32_e64 v18, v10
	s_cbranch_execz .LBB55_30
; %bb.32:                               ;   in Loop: Header=BB55_31 Depth=3
	v_add_nc_u32_e32 v5, 1, v5
	s_andn2_b32 s46, s46, exec_lo
	s_andn2_b32 s45, s45, exec_lo
	v_cmp_ge_i32_e32 vcc_lo, v5, v23
	s_and_b32 s48, vcc_lo, exec_lo
	s_or_b32 s46, s46, s48
	s_branch .LBB55_30
.LBB55_33:                              ;   in Loop: Header=BB55_10 Depth=2
	s_inst_prefetch 0x2
	s_or_b32 exec_lo, exec_lo, s44
	s_and_saveexec_b32 s44, s43
	s_xor_b32 s43, exec_lo, s44
	s_cbranch_execz .LBB55_35
; %bb.34:                               ;   in Loop: Header=BB55_10 Depth=2
	v_lshlrev_b64 v[18:19], 4, v[10:11]
	v_lshlrev_b64 v[16:17], 4, v[16:17]
	v_add_co_u32 v18, vcc_lo, s2, v18
	v_add_co_ci_u32_e64 v19, null, s3, v19, vcc_lo
	v_add_co_u32 v28, vcc_lo, s22, v16
	v_add_co_ci_u32_e64 v29, null, s23, v17, vcc_lo
	global_load_dwordx4 v[16:19], v[18:19], off
	global_load_dwordx4 v[28:31], v[28:29], off
	s_waitcnt vmcnt(0)
	v_mul_f64 v[32:33], v[18:19], -v[30:31]
	v_mul_f64 v[18:19], v[18:19], v[28:29]
	v_fma_f64 v[28:29], v[28:29], v[16:17], v[32:33]
	v_fma_f64 v[16:17], v[30:31], v[16:17], v[18:19]
	v_add_f64 v[12:13], v[12:13], v[28:29]
	v_add_f64 v[14:15], v[14:15], v[16:17]
.LBB55_35:                              ;   in Loop: Header=BB55_10 Depth=2
	s_or_b32 exec_lo, exec_lo, s43
.LBB55_36:                              ;   in Loop: Header=BB55_10 Depth=2
	s_or_b32 exec_lo, exec_lo, s42
                                        ; implicit-def: $vgpr17
                                        ; implicit-def: $vgpr16
                                        ; implicit-def: $vgpr28
	s_andn2_saveexec_b32 s1, s1
	s_cbranch_execz .LBB55_20
.LBB55_37:                              ;   in Loop: Header=BB55_10 Depth=2
	s_mov_b32 s43, 0
                                        ; implicit-def: $sgpr42
                                        ; implicit-def: $sgpr45
                                        ; implicit-def: $sgpr44
	s_inst_prefetch 0x1
	s_branch .LBB55_39
	.p2align	6
.LBB55_38:                              ;   in Loop: Header=BB55_39 Depth=3
	s_or_b32 exec_lo, exec_lo, s46
	s_and_b32 s46, exec_lo, s45
	s_or_b32 s43, s46, s43
	s_andn2_b32 s42, s42, exec_lo
	s_and_b32 s46, s44, exec_lo
	s_or_b32 s42, s42, s46
	s_andn2_b32 exec_lo, exec_lo, s43
	s_cbranch_execz .LBB55_41
.LBB55_39:                              ;   Parent Loop BB55_6 Depth=1
                                        ;     Parent Loop BB55_10 Depth=2
                                        ; =>    This Inner Loop Header: Depth=3
	v_add_nc_u32_e32 v18, v16, v17
	s_or_b32 s44, s44, exec_lo
	s_or_b32 s45, s45, exec_lo
	s_mov_b32 s46, exec_lo
	v_ashrrev_i32_e32 v19, 31, v18
	v_lshlrev_b64 v[29:30], 2, v[18:19]
	v_add_co_u32 v29, vcc_lo, s12, v29
	v_add_co_ci_u32_e64 v30, null, s13, v30, vcc_lo
	global_load_dword v5, v[29:30], off
	s_waitcnt vmcnt(0)
	v_subrev_nc_u32_e32 v5, s37, v5
	v_cmpx_ne_u32_e64 v5, v1
	s_cbranch_execz .LBB55_38
; %bb.40:                               ;   in Loop: Header=BB55_39 Depth=3
	v_add_nc_u32_e32 v17, 1, v17
	s_andn2_b32 s45, s45, exec_lo
	s_andn2_b32 s44, s44, exec_lo
	v_cmp_ge_i32_e32 vcc_lo, v17, v28
	s_and_b32 s47, vcc_lo, exec_lo
	s_or_b32 s45, s45, s47
	s_branch .LBB55_38
.LBB55_41:                              ;   in Loop: Header=BB55_10 Depth=2
	s_inst_prefetch 0x2
	s_or_b32 exec_lo, exec_lo, s43
	s_and_saveexec_b32 s43, s42
	s_xor_b32 s42, exec_lo, s43
	s_cbranch_execz .LBB55_43
; %bb.42:                               ;   in Loop: Header=BB55_10 Depth=2
	v_lshlrev_b64 v[16:17], 4, v[18:19]
	v_add_co_u32 v16, vcc_lo, s14, v16
	v_add_co_ci_u32_e64 v17, null, s15, v17, vcc_lo
	global_load_dwordx4 v[16:19], v[16:17], off
	s_waitcnt vmcnt(0)
	v_add_f64 v[12:13], v[12:13], v[16:17]
	v_add_f64 v[14:15], v[14:15], v[18:19]
.LBB55_43:                              ;   in Loop: Header=BB55_10 Depth=2
	s_or_b32 exec_lo, exec_lo, s42
	s_or_b32 exec_lo, exec_lo, s1
	s_mov_b32 s1, exec_lo
	v_cmpx_eq_u32_e64 v1, v10
	s_cbranch_execnz .LBB55_21
	s_branch .LBB55_22
.LBB55_44:
	s_or_b32 exec_lo, exec_lo, s38
.LBB55_45:
	s_or_b32 exec_lo, exec_lo, s33
.LBB55_46:
	s_or_b32 exec_lo, exec_lo, s6
	v_mbcnt_lo_u32_b32 v5, -1, 0
	v_or_b32_e32 v1, 32, v5
	v_xor_b32_e32 v6, 16, v5
	v_cmp_gt_i32_e32 vcc_lo, 32, v1
	v_cmp_gt_i32_e64 s0, 32, v6
	v_cndmask_b32_e32 v1, v5, v1, vcc_lo
	v_cndmask_b32_e64 v6, v5, v6, s0
	v_lshlrev_b32_e32 v2, 2, v1
	v_lshlrev_b32_e32 v6, 2, v6
	ds_bpermute_b32 v1, v2, v3
	ds_bpermute_b32 v2, v2, v4
	s_waitcnt lgkmcnt(0)
	v_cmp_lt_f64_e32 vcc_lo, v[3:4], v[1:2]
	v_cndmask_b32_e32 v2, v4, v2, vcc_lo
	v_cndmask_b32_e32 v1, v3, v1, vcc_lo
	ds_bpermute_b32 v4, v6, v2
	ds_bpermute_b32 v3, v6, v1
	v_xor_b32_e32 v6, 8, v5
	v_cmp_gt_i32_e64 s0, 32, v6
	v_cndmask_b32_e64 v6, v5, v6, s0
	v_lshlrev_b32_e32 v6, 2, v6
	s_waitcnt lgkmcnt(0)
	v_cmp_lt_f64_e32 vcc_lo, v[1:2], v[3:4]
	v_cndmask_b32_e32 v2, v2, v4, vcc_lo
	v_cndmask_b32_e32 v1, v1, v3, vcc_lo
	ds_bpermute_b32 v4, v6, v2
	ds_bpermute_b32 v3, v6, v1
	v_xor_b32_e32 v6, 4, v5
	v_cmp_gt_i32_e64 s0, 32, v6
	v_cndmask_b32_e64 v6, v5, v6, s0
	v_lshlrev_b32_e32 v6, 2, v6
	;; [unrolled: 10-line block ×3, first 2 shown]
	s_waitcnt lgkmcnt(0)
	v_cmp_lt_f64_e32 vcc_lo, v[1:2], v[3:4]
	v_cndmask_b32_e32 v2, v2, v4, vcc_lo
	v_cndmask_b32_e32 v1, v1, v3, vcc_lo
	ds_bpermute_b32 v4, v6, v2
	ds_bpermute_b32 v3, v6, v1
	v_xor_b32_e32 v6, 1, v5
	v_cmp_gt_i32_e64 s0, 32, v6
	v_cndmask_b32_e64 v5, v5, v6, s0
	s_mov_b32 s0, exec_lo
	v_lshlrev_b32_e32 v5, 2, v5
	s_waitcnt lgkmcnt(0)
	v_cmp_lt_f64_e32 vcc_lo, v[1:2], v[3:4]
	v_cndmask_b32_e32 v2, v2, v4, vcc_lo
	v_cndmask_b32_e32 v1, v1, v3, vcc_lo
	ds_bpermute_b32 v3, v5, v1
	ds_bpermute_b32 v5, v5, v2
	v_cmpx_eq_u32_e32 63, v21
	s_cbranch_execz .LBB55_48
; %bb.47:
	s_waitcnt lgkmcnt(0)
	v_mov_b32_e32 v4, v5
	v_cmp_lt_f64_e32 vcc_lo, v[1:2], v[3:4]
	v_lshlrev_b32_e32 v4, 3, v20
	v_cndmask_b32_e32 v2, v2, v5, vcc_lo
	v_cndmask_b32_e32 v1, v1, v3, vcc_lo
	ds_write_b64 v4, v[1:2]
.LBB55_48:
	s_or_b32 exec_lo, exec_lo, s0
	v_lshlrev_b32_e32 v1, 3, v0
	s_mov_b32 s0, exec_lo
	s_waitcnt lgkmcnt(0)
	s_barrier
	buffer_gl0_inv
	v_cmpx_gt_u32_e32 8, v0
	s_cbranch_execz .LBB55_50
; %bb.49:
	ds_read2_b64 v[2:5], v1 offset1:8
	s_waitcnt lgkmcnt(0)
	v_cmp_lt_f64_e32 vcc_lo, v[2:3], v[4:5]
	v_cndmask_b32_e32 v3, v3, v5, vcc_lo
	v_cndmask_b32_e32 v2, v2, v4, vcc_lo
	ds_write_b64 v1, v[2:3]
.LBB55_50:
	s_or_b32 exec_lo, exec_lo, s0
	s_mov_b32 s0, exec_lo
	s_waitcnt lgkmcnt(0)
	s_barrier
	buffer_gl0_inv
	v_cmpx_gt_u32_e32 4, v0
	s_cbranch_execz .LBB55_52
; %bb.51:
	ds_read2_b64 v[2:5], v1 offset1:4
	s_waitcnt lgkmcnt(0)
	v_cmp_lt_f64_e32 vcc_lo, v[2:3], v[4:5]
	v_cndmask_b32_e32 v3, v3, v5, vcc_lo
	v_cndmask_b32_e32 v2, v2, v4, vcc_lo
	ds_write_b64 v1, v[2:3]
.LBB55_52:
	s_or_b32 exec_lo, exec_lo, s0
	;; [unrolled: 15-line block ×3, first 2 shown]
	v_cmp_eq_u32_e32 vcc_lo, 0, v0
	s_waitcnt lgkmcnt(0)
	s_barrier
	buffer_gl0_inv
	s_and_saveexec_b32 s1, vcc_lo
	s_cbranch_execz .LBB55_56
; %bb.55:
	v_mov_b32_e32 v4, 0
	ds_read_b128 v[0:3], v4
	s_waitcnt lgkmcnt(0)
	v_cmp_lt_f64_e64 s0, v[0:1], v[2:3]
	v_cndmask_b32_e64 v1, v1, v3, s0
	v_cndmask_b32_e64 v0, v0, v2, s0
	ds_write_b64 v4, v[0:1]
.LBB55_56:
	s_or_b32 exec_lo, exec_lo, s1
	s_waitcnt lgkmcnt(0)
	s_barrier
	buffer_gl0_inv
	s_and_saveexec_b32 s0, vcc_lo
	s_cbranch_execz .LBB55_60
; %bb.57:
	v_mbcnt_lo_u32_b32 v0, exec_lo, 0
	s_mov_b32 s6, 0
	v_cmp_eq_u32_e32 vcc_lo, 0, v0
	s_and_b32 exec_lo, exec_lo, vcc_lo
	s_cbranch_execz .LBB55_60
; %bb.58:
	s_load_dwordx4 s[0:3], s[4:5], 0x88
	v_mov_b32_e32 v6, 0
	ds_read_b64 v[0:1], v6
	s_waitcnt lgkmcnt(0)
	s_load_dwordx2 s[2:3], s[2:3], 0x0
	s_waitcnt lgkmcnt(0)
	v_div_scale_f64 v[2:3], null, s[2:3], s[2:3], v[0:1]
	v_rcp_f64_e32 v[4:5], v[2:3]
	v_fma_f64 v[7:8], -v[2:3], v[4:5], 1.0
	v_fma_f64 v[4:5], v[4:5], v[7:8], v[4:5]
	v_fma_f64 v[7:8], -v[2:3], v[4:5], 1.0
	v_fma_f64 v[4:5], v[4:5], v[7:8], v[4:5]
	v_div_scale_f64 v[7:8], vcc_lo, v[0:1], s[2:3], v[0:1]
	v_mul_f64 v[9:10], v[7:8], v[4:5]
	v_fma_f64 v[2:3], -v[2:3], v[9:10], v[7:8]
	v_div_fmas_f64 v[2:3], v[2:3], v[4:5], v[9:10]
	v_div_fixup_f64 v[0:1], v[2:3], s[2:3], v[0:1]
	s_load_dwordx2 s[2:3], s[0:1], 0x0
	s_waitcnt lgkmcnt(0)
	v_mov_b32_e32 v2, s2
	v_max_f64 v[4:5], v[0:1], v[0:1]
	v_mov_b32_e32 v3, s3
.LBB55_59:                              ; =>This Inner Loop Header: Depth=1
	v_max_f64 v[0:1], v[2:3], v[2:3]
	v_max_f64 v[0:1], v[0:1], v[4:5]
	global_atomic_cmpswap_x2 v[0:1], v6, v[0:3], s[0:1] glc
	s_waitcnt vmcnt(0)
	v_cmp_eq_u64_e32 vcc_lo, v[0:1], v[2:3]
	v_mov_b32_e32 v3, v1
	v_mov_b32_e32 v2, v0
	s_or_b32 s6, vcc_lo, s6
	s_andn2_b32 exec_lo, exec_lo, s6
	s_cbranch_execnz .LBB55_59
.LBB55_60:
	s_endpgm
	.section	.rodata,"a",@progbits
	.p2align	6, 0x0
	.amdhsa_kernel _ZN9rocsparseL19kernel_nrm_residualILi1024ELi64E21rocsparse_complex_numIdEiiEEvT3_T2_PKS4_S6_PKS3_PKT1_21rocsparse_index_base_S6_S6_S8_SB_SC_S6_S6_S8_SB_SC_SB_PNS_15floating_traitsIS9_E6data_tEPKSF_
		.amdhsa_group_segment_fixed_size 128
		.amdhsa_private_segment_fixed_size 0
		.amdhsa_kernarg_size 152
		.amdhsa_user_sgpr_count 6
		.amdhsa_user_sgpr_private_segment_buffer 1
		.amdhsa_user_sgpr_dispatch_ptr 0
		.amdhsa_user_sgpr_queue_ptr 0
		.amdhsa_user_sgpr_kernarg_segment_ptr 1
		.amdhsa_user_sgpr_dispatch_id 0
		.amdhsa_user_sgpr_flat_scratch_init 0
		.amdhsa_user_sgpr_private_segment_size 0
		.amdhsa_wavefront_size32 1
		.amdhsa_uses_dynamic_stack 0
		.amdhsa_system_sgpr_private_segment_wavefront_offset 0
		.amdhsa_system_sgpr_workgroup_id_x 1
		.amdhsa_system_sgpr_workgroup_id_y 0
		.amdhsa_system_sgpr_workgroup_id_z 0
		.amdhsa_system_sgpr_workgroup_info 0
		.amdhsa_system_vgpr_workitem_id 0
		.amdhsa_next_free_vgpr 42
		.amdhsa_next_free_sgpr 49
		.amdhsa_reserve_vcc 1
		.amdhsa_reserve_flat_scratch 0
		.amdhsa_float_round_mode_32 0
		.amdhsa_float_round_mode_16_64 0
		.amdhsa_float_denorm_mode_32 3
		.amdhsa_float_denorm_mode_16_64 3
		.amdhsa_dx10_clamp 1
		.amdhsa_ieee_mode 1
		.amdhsa_fp16_overflow 0
		.amdhsa_workgroup_processor_mode 1
		.amdhsa_memory_ordered 1
		.amdhsa_forward_progress 1
		.amdhsa_shared_vgpr_count 0
		.amdhsa_exception_fp_ieee_invalid_op 0
		.amdhsa_exception_fp_denorm_src 0
		.amdhsa_exception_fp_ieee_div_zero 0
		.amdhsa_exception_fp_ieee_overflow 0
		.amdhsa_exception_fp_ieee_underflow 0
		.amdhsa_exception_fp_ieee_inexact 0
		.amdhsa_exception_int_div_zero 0
	.end_amdhsa_kernel
	.section	.text._ZN9rocsparseL19kernel_nrm_residualILi1024ELi64E21rocsparse_complex_numIdEiiEEvT3_T2_PKS4_S6_PKS3_PKT1_21rocsparse_index_base_S6_S6_S8_SB_SC_S6_S6_S8_SB_SC_SB_PNS_15floating_traitsIS9_E6data_tEPKSF_,"axG",@progbits,_ZN9rocsparseL19kernel_nrm_residualILi1024ELi64E21rocsparse_complex_numIdEiiEEvT3_T2_PKS4_S6_PKS3_PKT1_21rocsparse_index_base_S6_S6_S8_SB_SC_S6_S6_S8_SB_SC_SB_PNS_15floating_traitsIS9_E6data_tEPKSF_,comdat
.Lfunc_end55:
	.size	_ZN9rocsparseL19kernel_nrm_residualILi1024ELi64E21rocsparse_complex_numIdEiiEEvT3_T2_PKS4_S6_PKS3_PKT1_21rocsparse_index_base_S6_S6_S8_SB_SC_S6_S6_S8_SB_SC_SB_PNS_15floating_traitsIS9_E6data_tEPKSF_, .Lfunc_end55-_ZN9rocsparseL19kernel_nrm_residualILi1024ELi64E21rocsparse_complex_numIdEiiEEvT3_T2_PKS4_S6_PKS3_PKT1_21rocsparse_index_base_S6_S6_S8_SB_SC_S6_S6_S8_SB_SC_SB_PNS_15floating_traitsIS9_E6data_tEPKSF_
                                        ; -- End function
	.set _ZN9rocsparseL19kernel_nrm_residualILi1024ELi64E21rocsparse_complex_numIdEiiEEvT3_T2_PKS4_S6_PKS3_PKT1_21rocsparse_index_base_S6_S6_S8_SB_SC_S6_S6_S8_SB_SC_SB_PNS_15floating_traitsIS9_E6data_tEPKSF_.num_vgpr, 42
	.set _ZN9rocsparseL19kernel_nrm_residualILi1024ELi64E21rocsparse_complex_numIdEiiEEvT3_T2_PKS4_S6_PKS3_PKT1_21rocsparse_index_base_S6_S6_S8_SB_SC_S6_S6_S8_SB_SC_SB_PNS_15floating_traitsIS9_E6data_tEPKSF_.num_agpr, 0
	.set _ZN9rocsparseL19kernel_nrm_residualILi1024ELi64E21rocsparse_complex_numIdEiiEEvT3_T2_PKS4_S6_PKS3_PKT1_21rocsparse_index_base_S6_S6_S8_SB_SC_S6_S6_S8_SB_SC_SB_PNS_15floating_traitsIS9_E6data_tEPKSF_.numbered_sgpr, 49
	.set _ZN9rocsparseL19kernel_nrm_residualILi1024ELi64E21rocsparse_complex_numIdEiiEEvT3_T2_PKS4_S6_PKS3_PKT1_21rocsparse_index_base_S6_S6_S8_SB_SC_S6_S6_S8_SB_SC_SB_PNS_15floating_traitsIS9_E6data_tEPKSF_.num_named_barrier, 0
	.set _ZN9rocsparseL19kernel_nrm_residualILi1024ELi64E21rocsparse_complex_numIdEiiEEvT3_T2_PKS4_S6_PKS3_PKT1_21rocsparse_index_base_S6_S6_S8_SB_SC_S6_S6_S8_SB_SC_SB_PNS_15floating_traitsIS9_E6data_tEPKSF_.private_seg_size, 0
	.set _ZN9rocsparseL19kernel_nrm_residualILi1024ELi64E21rocsparse_complex_numIdEiiEEvT3_T2_PKS4_S6_PKS3_PKT1_21rocsparse_index_base_S6_S6_S8_SB_SC_S6_S6_S8_SB_SC_SB_PNS_15floating_traitsIS9_E6data_tEPKSF_.uses_vcc, 1
	.set _ZN9rocsparseL19kernel_nrm_residualILi1024ELi64E21rocsparse_complex_numIdEiiEEvT3_T2_PKS4_S6_PKS3_PKT1_21rocsparse_index_base_S6_S6_S8_SB_SC_S6_S6_S8_SB_SC_SB_PNS_15floating_traitsIS9_E6data_tEPKSF_.uses_flat_scratch, 0
	.set _ZN9rocsparseL19kernel_nrm_residualILi1024ELi64E21rocsparse_complex_numIdEiiEEvT3_T2_PKS4_S6_PKS3_PKT1_21rocsparse_index_base_S6_S6_S8_SB_SC_S6_S6_S8_SB_SC_SB_PNS_15floating_traitsIS9_E6data_tEPKSF_.has_dyn_sized_stack, 0
	.set _ZN9rocsparseL19kernel_nrm_residualILi1024ELi64E21rocsparse_complex_numIdEiiEEvT3_T2_PKS4_S6_PKS3_PKT1_21rocsparse_index_base_S6_S6_S8_SB_SC_S6_S6_S8_SB_SC_SB_PNS_15floating_traitsIS9_E6data_tEPKSF_.has_recursion, 0
	.set _ZN9rocsparseL19kernel_nrm_residualILi1024ELi64E21rocsparse_complex_numIdEiiEEvT3_T2_PKS4_S6_PKS3_PKT1_21rocsparse_index_base_S6_S6_S8_SB_SC_S6_S6_S8_SB_SC_SB_PNS_15floating_traitsIS9_E6data_tEPKSF_.has_indirect_call, 0
	.section	.AMDGPU.csdata,"",@progbits
; Kernel info:
; codeLenInByte = 3252
; TotalNumSgprs: 51
; NumVgprs: 42
; ScratchSize: 0
; MemoryBound: 1
; FloatMode: 240
; IeeeMode: 1
; LDSByteSize: 128 bytes/workgroup (compile time only)
; SGPRBlocks: 0
; VGPRBlocks: 5
; NumSGPRsForWavesPerEU: 51
; NumVGPRsForWavesPerEU: 42
; Occupancy: 16
; WaveLimiterHint : 1
; COMPUTE_PGM_RSRC2:SCRATCH_EN: 0
; COMPUTE_PGM_RSRC2:USER_SGPR: 6
; COMPUTE_PGM_RSRC2:TRAP_HANDLER: 0
; COMPUTE_PGM_RSRC2:TGID_X_EN: 1
; COMPUTE_PGM_RSRC2:TGID_Y_EN: 0
; COMPUTE_PGM_RSRC2:TGID_Z_EN: 0
; COMPUTE_PGM_RSRC2:TIDIG_COMP_CNT: 0
	.section	.AMDGPU.gpr_maximums,"",@progbits
	.set amdgpu.max_num_vgpr, 0
	.set amdgpu.max_num_agpr, 0
	.set amdgpu.max_num_sgpr, 0
	.section	.AMDGPU.csdata,"",@progbits
	.type	__hip_cuid_ac723f37ecad06ff,@object ; @__hip_cuid_ac723f37ecad06ff
	.section	.bss,"aw",@nobits
	.globl	__hip_cuid_ac723f37ecad06ff
__hip_cuid_ac723f37ecad06ff:
	.byte	0                               ; 0x0
	.size	__hip_cuid_ac723f37ecad06ff, 1

	.ident	"AMD clang version 22.0.0git (https://github.com/RadeonOpenCompute/llvm-project roc-7.2.4 26084 f58b06dce1f9c15707c5f808fd002e18c2accf7e)"
	.section	".note.GNU-stack","",@progbits
	.addrsig
	.addrsig_sym __hip_cuid_ac723f37ecad06ff
	.amdgpu_metadata
---
amdhsa.kernels:
  - .args:
      - .offset:         0
        .size:           4
        .value_kind:     by_value
      - .offset:         4
        .size:           4
        .value_kind:     by_value
      - .actual_access:  read_only
        .address_space:  global
        .offset:         8
        .size:           8
        .value_kind:     global_buffer
      - .actual_access:  read_only
        .address_space:  global
        .offset:         16
        .size:           8
        .value_kind:     global_buffer
      - .actual_access:  read_only
        .address_space:  global
        .offset:         24
        .size:           8
        .value_kind:     global_buffer
      - .actual_access:  read_only
        .address_space:  global
        .offset:         32
        .size:           8
        .value_kind:     global_buffer
      - .offset:         40
        .size:           4
        .value_kind:     by_value
      - .actual_access:  read_only
        .address_space:  global
        .offset:         48
        .size:           8
        .value_kind:     global_buffer
      - .actual_access:  read_only
        .address_space:  global
        .offset:         56
        .size:           8
        .value_kind:     global_buffer
      - .actual_access:  read_only
        .address_space:  global
        .offset:         64
        .size:           8
        .value_kind:     global_buffer
      - .actual_access:  read_only
        .address_space:  global
        .offset:         72
        .size:           8
        .value_kind:     global_buffer
      - .actual_access:  write_only
        .address_space:  global
        .offset:         80
        .size:           8
        .value_kind:     global_buffer
      - .offset:         88
        .size:           4
        .value_kind:     by_value
      - .actual_access:  read_only
        .address_space:  global
        .offset:         96
        .size:           8
        .value_kind:     global_buffer
      - .actual_access:  read_only
        .address_space:  global
        .offset:         104
        .size:           8
        .value_kind:     global_buffer
      - .actual_access:  read_only
        .address_space:  global
        .offset:         112
        .size:           8
        .value_kind:     global_buffer
      - .actual_access:  read_only
        .address_space:  global
        .offset:         120
        .size:           8
        .value_kind:     global_buffer
      - .actual_access:  write_only
        .address_space:  global
        .offset:         128
        .size:           8
        .value_kind:     global_buffer
      - .offset:         136
        .size:           4
        .value_kind:     by_value
      - .actual_access:  read_only
        .address_space:  global
        .offset:         144
        .size:           8
        .value_kind:     global_buffer
      - .actual_access:  write_only
        .address_space:  global
        .offset:         152
        .size:           8
        .value_kind:     global_buffer
    .group_segment_fixed_size: 0
    .kernarg_segment_align: 8
    .kernarg_segment_size: 160
    .language:       OpenCL C
    .language_version:
      - 2
      - 0
    .max_flat_workgroup_size: 1024
    .name:           _ZN9rocsparseL17kernel_correctionILi1024ELi1EfiiEEvT3_T2_PKS2_S4_PKS1_PKT1_21rocsparse_index_base_S4_S4_S6_S9_PS7_SA_S4_S4_S6_S9_SB_SA_S9_SB_
    .private_segment_fixed_size: 0
    .sgpr_count:     54
    .sgpr_spill_count: 0
    .symbol:         _ZN9rocsparseL17kernel_correctionILi1024ELi1EfiiEEvT3_T2_PKS2_S4_PKS1_PKT1_21rocsparse_index_base_S4_S4_S6_S9_PS7_SA_S4_S4_S6_S9_SB_SA_S9_SB_.kd
    .uniform_work_group_size: 1
    .uses_dynamic_stack: false
    .vgpr_count:     33
    .vgpr_spill_count: 0
    .wavefront_size: 32
    .workgroup_processor_mode: 1
  - .args:
      - .offset:         0
        .size:           4
        .value_kind:     by_value
      - .offset:         4
        .size:           4
        .value_kind:     by_value
      - .actual_access:  read_only
        .address_space:  global
        .offset:         8
        .size:           8
        .value_kind:     global_buffer
      - .actual_access:  read_only
        .address_space:  global
        .offset:         16
        .size:           8
        .value_kind:     global_buffer
      - .actual_access:  read_only
        .address_space:  global
        .offset:         24
        .size:           8
        .value_kind:     global_buffer
      - .actual_access:  read_only
        .address_space:  global
        .offset:         32
        .size:           8
        .value_kind:     global_buffer
      - .offset:         40
        .size:           4
        .value_kind:     by_value
      - .actual_access:  read_only
        .address_space:  global
        .offset:         48
        .size:           8
        .value_kind:     global_buffer
      - .actual_access:  read_only
        .address_space:  global
        .offset:         56
        .size:           8
        .value_kind:     global_buffer
      - .actual_access:  read_only
        .address_space:  global
        .offset:         64
        .size:           8
        .value_kind:     global_buffer
      - .actual_access:  read_only
        .address_space:  global
        .offset:         72
        .size:           8
        .value_kind:     global_buffer
      - .actual_access:  write_only
        .address_space:  global
        .offset:         80
        .size:           8
        .value_kind:     global_buffer
      - .offset:         88
        .size:           4
        .value_kind:     by_value
      - .actual_access:  read_only
        .address_space:  global
        .offset:         96
        .size:           8
        .value_kind:     global_buffer
      - .actual_access:  read_only
        .address_space:  global
        .offset:         104
        .size:           8
        .value_kind:     global_buffer
      - .actual_access:  read_only
        .address_space:  global
        .offset:         112
        .size:           8
        .value_kind:     global_buffer
      - .actual_access:  read_only
        .address_space:  global
        .offset:         120
        .size:           8
        .value_kind:     global_buffer
      - .actual_access:  write_only
        .address_space:  global
        .offset:         128
        .size:           8
        .value_kind:     global_buffer
      - .offset:         136
        .size:           4
        .value_kind:     by_value
      - .actual_access:  read_only
        .address_space:  global
        .offset:         144
        .size:           8
        .value_kind:     global_buffer
      - .actual_access:  write_only
        .address_space:  global
        .offset:         152
        .size:           8
        .value_kind:     global_buffer
    .group_segment_fixed_size: 0
    .kernarg_segment_align: 8
    .kernarg_segment_size: 160
    .language:       OpenCL C
    .language_version:
      - 2
      - 0
    .max_flat_workgroup_size: 1024
    .name:           _ZN9rocsparseL17kernel_correctionILi1024ELi2EfiiEEvT3_T2_PKS2_S4_PKS1_PKT1_21rocsparse_index_base_S4_S4_S6_S9_PS7_SA_S4_S4_S6_S9_SB_SA_S9_SB_
    .private_segment_fixed_size: 0
    .sgpr_count:     54
    .sgpr_spill_count: 0
    .symbol:         _ZN9rocsparseL17kernel_correctionILi1024ELi2EfiiEEvT3_T2_PKS2_S4_PKS1_PKT1_21rocsparse_index_base_S4_S4_S6_S9_PS7_SA_S4_S4_S6_S9_SB_SA_S9_SB_.kd
    .uniform_work_group_size: 1
    .uses_dynamic_stack: false
    .vgpr_count:     34
    .vgpr_spill_count: 0
    .wavefront_size: 32
    .workgroup_processor_mode: 1
  - .args:
      - .offset:         0
        .size:           4
        .value_kind:     by_value
      - .offset:         4
        .size:           4
        .value_kind:     by_value
      - .actual_access:  read_only
        .address_space:  global
        .offset:         8
        .size:           8
        .value_kind:     global_buffer
      - .actual_access:  read_only
        .address_space:  global
        .offset:         16
        .size:           8
        .value_kind:     global_buffer
      - .actual_access:  read_only
        .address_space:  global
        .offset:         24
        .size:           8
        .value_kind:     global_buffer
      - .actual_access:  read_only
        .address_space:  global
        .offset:         32
        .size:           8
        .value_kind:     global_buffer
      - .offset:         40
        .size:           4
        .value_kind:     by_value
      - .actual_access:  read_only
        .address_space:  global
        .offset:         48
        .size:           8
        .value_kind:     global_buffer
      - .actual_access:  read_only
        .address_space:  global
        .offset:         56
        .size:           8
        .value_kind:     global_buffer
      - .actual_access:  read_only
        .address_space:  global
        .offset:         64
        .size:           8
        .value_kind:     global_buffer
      - .actual_access:  read_only
        .address_space:  global
        .offset:         72
        .size:           8
        .value_kind:     global_buffer
      - .actual_access:  write_only
        .address_space:  global
        .offset:         80
        .size:           8
        .value_kind:     global_buffer
      - .offset:         88
        .size:           4
        .value_kind:     by_value
      - .actual_access:  read_only
        .address_space:  global
        .offset:         96
        .size:           8
        .value_kind:     global_buffer
      - .actual_access:  read_only
        .address_space:  global
        .offset:         104
        .size:           8
        .value_kind:     global_buffer
      - .actual_access:  read_only
        .address_space:  global
        .offset:         112
        .size:           8
        .value_kind:     global_buffer
      - .actual_access:  read_only
        .address_space:  global
        .offset:         120
        .size:           8
        .value_kind:     global_buffer
      - .actual_access:  write_only
        .address_space:  global
        .offset:         128
        .size:           8
        .value_kind:     global_buffer
      - .offset:         136
        .size:           4
        .value_kind:     by_value
      - .actual_access:  read_only
        .address_space:  global
        .offset:         144
        .size:           8
        .value_kind:     global_buffer
      - .actual_access:  write_only
        .address_space:  global
        .offset:         152
        .size:           8
        .value_kind:     global_buffer
    .group_segment_fixed_size: 0
    .kernarg_segment_align: 8
    .kernarg_segment_size: 160
    .language:       OpenCL C
    .language_version:
      - 2
      - 0
    .max_flat_workgroup_size: 1024
    .name:           _ZN9rocsparseL17kernel_correctionILi1024ELi4EfiiEEvT3_T2_PKS2_S4_PKS1_PKT1_21rocsparse_index_base_S4_S4_S6_S9_PS7_SA_S4_S4_S6_S9_SB_SA_S9_SB_
    .private_segment_fixed_size: 0
    .sgpr_count:     54
    .sgpr_spill_count: 0
    .symbol:         _ZN9rocsparseL17kernel_correctionILi1024ELi4EfiiEEvT3_T2_PKS2_S4_PKS1_PKT1_21rocsparse_index_base_S4_S4_S6_S9_PS7_SA_S4_S4_S6_S9_SB_SA_S9_SB_.kd
    .uniform_work_group_size: 1
    .uses_dynamic_stack: false
    .vgpr_count:     34
    .vgpr_spill_count: 0
    .wavefront_size: 32
    .workgroup_processor_mode: 1
  - .args:
      - .offset:         0
        .size:           4
        .value_kind:     by_value
      - .offset:         4
        .size:           4
        .value_kind:     by_value
      - .actual_access:  read_only
        .address_space:  global
        .offset:         8
        .size:           8
        .value_kind:     global_buffer
      - .actual_access:  read_only
        .address_space:  global
        .offset:         16
        .size:           8
        .value_kind:     global_buffer
      - .actual_access:  read_only
        .address_space:  global
        .offset:         24
        .size:           8
        .value_kind:     global_buffer
      - .actual_access:  read_only
        .address_space:  global
        .offset:         32
        .size:           8
        .value_kind:     global_buffer
      - .offset:         40
        .size:           4
        .value_kind:     by_value
      - .actual_access:  read_only
        .address_space:  global
        .offset:         48
        .size:           8
        .value_kind:     global_buffer
      - .actual_access:  read_only
        .address_space:  global
        .offset:         56
        .size:           8
        .value_kind:     global_buffer
      - .actual_access:  read_only
        .address_space:  global
        .offset:         64
        .size:           8
        .value_kind:     global_buffer
      - .actual_access:  read_only
        .address_space:  global
        .offset:         72
        .size:           8
        .value_kind:     global_buffer
      - .actual_access:  write_only
        .address_space:  global
        .offset:         80
        .size:           8
        .value_kind:     global_buffer
      - .offset:         88
        .size:           4
        .value_kind:     by_value
      - .actual_access:  read_only
        .address_space:  global
        .offset:         96
        .size:           8
        .value_kind:     global_buffer
      - .actual_access:  read_only
        .address_space:  global
        .offset:         104
        .size:           8
        .value_kind:     global_buffer
      - .actual_access:  read_only
        .address_space:  global
        .offset:         112
        .size:           8
        .value_kind:     global_buffer
      - .actual_access:  read_only
        .address_space:  global
        .offset:         120
        .size:           8
        .value_kind:     global_buffer
      - .actual_access:  write_only
        .address_space:  global
        .offset:         128
        .size:           8
        .value_kind:     global_buffer
      - .offset:         136
        .size:           4
        .value_kind:     by_value
      - .actual_access:  read_only
        .address_space:  global
        .offset:         144
        .size:           8
        .value_kind:     global_buffer
      - .actual_access:  write_only
        .address_space:  global
        .offset:         152
        .size:           8
        .value_kind:     global_buffer
    .group_segment_fixed_size: 0
    .kernarg_segment_align: 8
    .kernarg_segment_size: 160
    .language:       OpenCL C
    .language_version:
      - 2
      - 0
    .max_flat_workgroup_size: 1024
    .name:           _ZN9rocsparseL17kernel_correctionILi1024ELi8EfiiEEvT3_T2_PKS2_S4_PKS1_PKT1_21rocsparse_index_base_S4_S4_S6_S9_PS7_SA_S4_S4_S6_S9_SB_SA_S9_SB_
    .private_segment_fixed_size: 0
    .sgpr_count:     54
    .sgpr_spill_count: 0
    .symbol:         _ZN9rocsparseL17kernel_correctionILi1024ELi8EfiiEEvT3_T2_PKS2_S4_PKS1_PKT1_21rocsparse_index_base_S4_S4_S6_S9_PS7_SA_S4_S4_S6_S9_SB_SA_S9_SB_.kd
    .uniform_work_group_size: 1
    .uses_dynamic_stack: false
    .vgpr_count:     34
    .vgpr_spill_count: 0
    .wavefront_size: 32
    .workgroup_processor_mode: 1
  - .args:
      - .offset:         0
        .size:           4
        .value_kind:     by_value
      - .offset:         4
        .size:           4
        .value_kind:     by_value
      - .actual_access:  read_only
        .address_space:  global
        .offset:         8
        .size:           8
        .value_kind:     global_buffer
      - .actual_access:  read_only
        .address_space:  global
        .offset:         16
        .size:           8
        .value_kind:     global_buffer
      - .actual_access:  read_only
        .address_space:  global
        .offset:         24
        .size:           8
        .value_kind:     global_buffer
      - .actual_access:  read_only
        .address_space:  global
        .offset:         32
        .size:           8
        .value_kind:     global_buffer
      - .offset:         40
        .size:           4
        .value_kind:     by_value
      - .actual_access:  read_only
        .address_space:  global
        .offset:         48
        .size:           8
        .value_kind:     global_buffer
      - .actual_access:  read_only
        .address_space:  global
        .offset:         56
        .size:           8
        .value_kind:     global_buffer
      - .actual_access:  read_only
        .address_space:  global
        .offset:         64
        .size:           8
        .value_kind:     global_buffer
      - .actual_access:  read_only
        .address_space:  global
        .offset:         72
        .size:           8
        .value_kind:     global_buffer
      - .actual_access:  write_only
        .address_space:  global
        .offset:         80
        .size:           8
        .value_kind:     global_buffer
      - .offset:         88
        .size:           4
        .value_kind:     by_value
      - .actual_access:  read_only
        .address_space:  global
        .offset:         96
        .size:           8
        .value_kind:     global_buffer
      - .actual_access:  read_only
        .address_space:  global
        .offset:         104
        .size:           8
        .value_kind:     global_buffer
      - .actual_access:  read_only
        .address_space:  global
        .offset:         112
        .size:           8
        .value_kind:     global_buffer
      - .actual_access:  read_only
        .address_space:  global
        .offset:         120
        .size:           8
        .value_kind:     global_buffer
      - .actual_access:  write_only
        .address_space:  global
        .offset:         128
        .size:           8
        .value_kind:     global_buffer
      - .offset:         136
        .size:           4
        .value_kind:     by_value
      - .actual_access:  read_only
        .address_space:  global
        .offset:         144
        .size:           8
        .value_kind:     global_buffer
      - .actual_access:  write_only
        .address_space:  global
        .offset:         152
        .size:           8
        .value_kind:     global_buffer
    .group_segment_fixed_size: 0
    .kernarg_segment_align: 8
    .kernarg_segment_size: 160
    .language:       OpenCL C
    .language_version:
      - 2
      - 0
    .max_flat_workgroup_size: 1024
    .name:           _ZN9rocsparseL17kernel_correctionILi1024ELi16EfiiEEvT3_T2_PKS2_S4_PKS1_PKT1_21rocsparse_index_base_S4_S4_S6_S9_PS7_SA_S4_S4_S6_S9_SB_SA_S9_SB_
    .private_segment_fixed_size: 0
    .sgpr_count:     54
    .sgpr_spill_count: 0
    .symbol:         _ZN9rocsparseL17kernel_correctionILi1024ELi16EfiiEEvT3_T2_PKS2_S4_PKS1_PKT1_21rocsparse_index_base_S4_S4_S6_S9_PS7_SA_S4_S4_S6_S9_SB_SA_S9_SB_.kd
    .uniform_work_group_size: 1
    .uses_dynamic_stack: false
    .vgpr_count:     34
    .vgpr_spill_count: 0
    .wavefront_size: 32
    .workgroup_processor_mode: 1
  - .args:
      - .offset:         0
        .size:           4
        .value_kind:     by_value
      - .offset:         4
        .size:           4
        .value_kind:     by_value
      - .actual_access:  read_only
        .address_space:  global
        .offset:         8
        .size:           8
        .value_kind:     global_buffer
      - .actual_access:  read_only
        .address_space:  global
        .offset:         16
        .size:           8
        .value_kind:     global_buffer
      - .actual_access:  read_only
        .address_space:  global
        .offset:         24
        .size:           8
        .value_kind:     global_buffer
      - .actual_access:  read_only
        .address_space:  global
        .offset:         32
        .size:           8
        .value_kind:     global_buffer
      - .offset:         40
        .size:           4
        .value_kind:     by_value
      - .actual_access:  read_only
        .address_space:  global
        .offset:         48
        .size:           8
        .value_kind:     global_buffer
      - .actual_access:  read_only
        .address_space:  global
        .offset:         56
        .size:           8
        .value_kind:     global_buffer
      - .actual_access:  read_only
        .address_space:  global
        .offset:         64
        .size:           8
        .value_kind:     global_buffer
      - .actual_access:  read_only
        .address_space:  global
        .offset:         72
        .size:           8
        .value_kind:     global_buffer
      - .actual_access:  write_only
        .address_space:  global
        .offset:         80
        .size:           8
        .value_kind:     global_buffer
      - .offset:         88
        .size:           4
        .value_kind:     by_value
      - .actual_access:  read_only
        .address_space:  global
        .offset:         96
        .size:           8
        .value_kind:     global_buffer
      - .actual_access:  read_only
        .address_space:  global
        .offset:         104
        .size:           8
        .value_kind:     global_buffer
      - .actual_access:  read_only
        .address_space:  global
        .offset:         112
        .size:           8
        .value_kind:     global_buffer
      - .actual_access:  read_only
        .address_space:  global
        .offset:         120
        .size:           8
        .value_kind:     global_buffer
      - .actual_access:  write_only
        .address_space:  global
        .offset:         128
        .size:           8
        .value_kind:     global_buffer
      - .offset:         136
        .size:           4
        .value_kind:     by_value
      - .actual_access:  read_only
        .address_space:  global
        .offset:         144
        .size:           8
        .value_kind:     global_buffer
      - .actual_access:  write_only
        .address_space:  global
        .offset:         152
        .size:           8
        .value_kind:     global_buffer
    .group_segment_fixed_size: 0
    .kernarg_segment_align: 8
    .kernarg_segment_size: 160
    .language:       OpenCL C
    .language_version:
      - 2
      - 0
    .max_flat_workgroup_size: 1024
    .name:           _ZN9rocsparseL17kernel_correctionILi1024ELi32EfiiEEvT3_T2_PKS2_S4_PKS1_PKT1_21rocsparse_index_base_S4_S4_S6_S9_PS7_SA_S4_S4_S6_S9_SB_SA_S9_SB_
    .private_segment_fixed_size: 0
    .sgpr_count:     54
    .sgpr_spill_count: 0
    .symbol:         _ZN9rocsparseL17kernel_correctionILi1024ELi32EfiiEEvT3_T2_PKS2_S4_PKS1_PKT1_21rocsparse_index_base_S4_S4_S6_S9_PS7_SA_S4_S4_S6_S9_SB_SA_S9_SB_.kd
    .uniform_work_group_size: 1
    .uses_dynamic_stack: false
    .vgpr_count:     34
    .vgpr_spill_count: 0
    .wavefront_size: 32
    .workgroup_processor_mode: 1
  - .args:
      - .offset:         0
        .size:           4
        .value_kind:     by_value
      - .offset:         4
        .size:           4
        .value_kind:     by_value
      - .actual_access:  read_only
        .address_space:  global
        .offset:         8
        .size:           8
        .value_kind:     global_buffer
      - .actual_access:  read_only
        .address_space:  global
        .offset:         16
        .size:           8
        .value_kind:     global_buffer
      - .actual_access:  read_only
        .address_space:  global
        .offset:         24
        .size:           8
        .value_kind:     global_buffer
      - .actual_access:  read_only
        .address_space:  global
        .offset:         32
        .size:           8
        .value_kind:     global_buffer
      - .offset:         40
        .size:           4
        .value_kind:     by_value
      - .actual_access:  read_only
        .address_space:  global
        .offset:         48
        .size:           8
        .value_kind:     global_buffer
      - .actual_access:  read_only
        .address_space:  global
        .offset:         56
        .size:           8
        .value_kind:     global_buffer
      - .actual_access:  read_only
        .address_space:  global
        .offset:         64
        .size:           8
        .value_kind:     global_buffer
      - .actual_access:  read_only
        .address_space:  global
        .offset:         72
        .size:           8
        .value_kind:     global_buffer
      - .actual_access:  write_only
        .address_space:  global
        .offset:         80
        .size:           8
        .value_kind:     global_buffer
      - .offset:         88
        .size:           4
        .value_kind:     by_value
      - .actual_access:  read_only
        .address_space:  global
        .offset:         96
        .size:           8
        .value_kind:     global_buffer
      - .actual_access:  read_only
        .address_space:  global
        .offset:         104
        .size:           8
        .value_kind:     global_buffer
      - .actual_access:  read_only
        .address_space:  global
        .offset:         112
        .size:           8
        .value_kind:     global_buffer
      - .actual_access:  read_only
        .address_space:  global
        .offset:         120
        .size:           8
        .value_kind:     global_buffer
      - .actual_access:  write_only
        .address_space:  global
        .offset:         128
        .size:           8
        .value_kind:     global_buffer
      - .offset:         136
        .size:           4
        .value_kind:     by_value
      - .actual_access:  read_only
        .address_space:  global
        .offset:         144
        .size:           8
        .value_kind:     global_buffer
      - .actual_access:  write_only
        .address_space:  global
        .offset:         152
        .size:           8
        .value_kind:     global_buffer
    .group_segment_fixed_size: 0
    .kernarg_segment_align: 8
    .kernarg_segment_size: 160
    .language:       OpenCL C
    .language_version:
      - 2
      - 0
    .max_flat_workgroup_size: 1024
    .name:           _ZN9rocsparseL17kernel_correctionILi1024ELi64EfiiEEvT3_T2_PKS2_S4_PKS1_PKT1_21rocsparse_index_base_S4_S4_S6_S9_PS7_SA_S4_S4_S6_S9_SB_SA_S9_SB_
    .private_segment_fixed_size: 0
    .sgpr_count:     54
    .sgpr_spill_count: 0
    .symbol:         _ZN9rocsparseL17kernel_correctionILi1024ELi64EfiiEEvT3_T2_PKS2_S4_PKS1_PKT1_21rocsparse_index_base_S4_S4_S6_S9_PS7_SA_S4_S4_S6_S9_SB_SA_S9_SB_.kd
    .uniform_work_group_size: 1
    .uses_dynamic_stack: false
    .vgpr_count:     34
    .vgpr_spill_count: 0
    .wavefront_size: 32
    .workgroup_processor_mode: 1
  - .args:
      - .offset:         0
        .size:           4
        .value_kind:     by_value
      - .offset:         4
        .size:           4
        .value_kind:     by_value
      - .actual_access:  read_only
        .address_space:  global
        .offset:         8
        .size:           8
        .value_kind:     global_buffer
      - .actual_access:  read_only
        .address_space:  global
        .offset:         16
        .size:           8
        .value_kind:     global_buffer
      - .actual_access:  read_only
        .address_space:  global
        .offset:         24
        .size:           8
        .value_kind:     global_buffer
      - .actual_access:  read_only
        .address_space:  global
        .offset:         32
        .size:           8
        .value_kind:     global_buffer
      - .offset:         40
        .size:           4
        .value_kind:     by_value
      - .actual_access:  read_only
        .address_space:  global
        .offset:         48
        .size:           8
        .value_kind:     global_buffer
      - .actual_access:  read_only
        .address_space:  global
        .offset:         56
        .size:           8
        .value_kind:     global_buffer
      - .actual_access:  read_only
        .address_space:  global
        .offset:         64
        .size:           8
        .value_kind:     global_buffer
      - .actual_access:  read_only
        .address_space:  global
        .offset:         72
        .size:           8
        .value_kind:     global_buffer
      - .offset:         80
        .size:           4
        .value_kind:     by_value
      - .actual_access:  read_only
        .address_space:  global
        .offset:         88
        .size:           8
        .value_kind:     global_buffer
      - .actual_access:  read_only
        .address_space:  global
        .offset:         96
        .size:           8
        .value_kind:     global_buffer
      - .actual_access:  read_only
        .address_space:  global
        .offset:         104
        .size:           8
        .value_kind:     global_buffer
      - .actual_access:  read_only
        .address_space:  global
        .offset:         112
        .size:           8
        .value_kind:     global_buffer
      - .offset:         120
        .size:           4
        .value_kind:     by_value
      - .actual_access:  read_only
        .address_space:  global
        .offset:         128
        .size:           8
        .value_kind:     global_buffer
      - .address_space:  global
        .offset:         136
        .size:           8
        .value_kind:     global_buffer
      - .actual_access:  read_only
        .address_space:  global
        .offset:         144
        .size:           8
        .value_kind:     global_buffer
    .group_segment_fixed_size: 4096
    .kernarg_segment_align: 8
    .kernarg_segment_size: 152
    .language:       OpenCL C
    .language_version:
      - 2
      - 0
    .max_flat_workgroup_size: 1024
    .name:           _ZN9rocsparseL19kernel_nrm_residualILi1024ELi1EfiiEEvT3_T2_PKS2_S4_PKS1_PKT1_21rocsparse_index_base_S4_S4_S6_S9_SA_S4_S4_S6_S9_SA_S9_PNS_15floating_traitsIS7_E6data_tEPKSD_
    .private_segment_fixed_size: 0
    .sgpr_count:     50
    .sgpr_spill_count: 0
    .symbol:         _ZN9rocsparseL19kernel_nrm_residualILi1024ELi1EfiiEEvT3_T2_PKS2_S4_PKS1_PKT1_21rocsparse_index_base_S4_S4_S6_S9_SA_S4_S4_S6_S9_SA_S9_PNS_15floating_traitsIS7_E6data_tEPKSD_.kd
    .uniform_work_group_size: 1
    .uses_dynamic_stack: false
    .vgpr_count:     34
    .vgpr_spill_count: 0
    .wavefront_size: 32
    .workgroup_processor_mode: 1
  - .args:
      - .offset:         0
        .size:           4
        .value_kind:     by_value
      - .offset:         4
        .size:           4
        .value_kind:     by_value
      - .actual_access:  read_only
        .address_space:  global
        .offset:         8
        .size:           8
        .value_kind:     global_buffer
      - .actual_access:  read_only
        .address_space:  global
        .offset:         16
        .size:           8
        .value_kind:     global_buffer
      - .actual_access:  read_only
        .address_space:  global
        .offset:         24
        .size:           8
        .value_kind:     global_buffer
      - .actual_access:  read_only
        .address_space:  global
        .offset:         32
        .size:           8
        .value_kind:     global_buffer
      - .offset:         40
        .size:           4
        .value_kind:     by_value
      - .actual_access:  read_only
        .address_space:  global
        .offset:         48
        .size:           8
        .value_kind:     global_buffer
      - .actual_access:  read_only
        .address_space:  global
        .offset:         56
        .size:           8
        .value_kind:     global_buffer
      - .actual_access:  read_only
        .address_space:  global
        .offset:         64
        .size:           8
        .value_kind:     global_buffer
      - .actual_access:  read_only
        .address_space:  global
        .offset:         72
        .size:           8
        .value_kind:     global_buffer
      - .offset:         80
        .size:           4
        .value_kind:     by_value
      - .actual_access:  read_only
        .address_space:  global
        .offset:         88
        .size:           8
        .value_kind:     global_buffer
      - .actual_access:  read_only
        .address_space:  global
        .offset:         96
        .size:           8
        .value_kind:     global_buffer
      - .actual_access:  read_only
        .address_space:  global
        .offset:         104
        .size:           8
        .value_kind:     global_buffer
      - .actual_access:  read_only
        .address_space:  global
        .offset:         112
        .size:           8
        .value_kind:     global_buffer
      - .offset:         120
        .size:           4
        .value_kind:     by_value
      - .actual_access:  read_only
        .address_space:  global
        .offset:         128
        .size:           8
        .value_kind:     global_buffer
      - .address_space:  global
        .offset:         136
        .size:           8
        .value_kind:     global_buffer
      - .actual_access:  read_only
        .address_space:  global
        .offset:         144
        .size:           8
        .value_kind:     global_buffer
    .group_segment_fixed_size: 2048
    .kernarg_segment_align: 8
    .kernarg_segment_size: 152
    .language:       OpenCL C
    .language_version:
      - 2
      - 0
    .max_flat_workgroup_size: 1024
    .name:           _ZN9rocsparseL19kernel_nrm_residualILi1024ELi2EfiiEEvT3_T2_PKS2_S4_PKS1_PKT1_21rocsparse_index_base_S4_S4_S6_S9_SA_S4_S4_S6_S9_SA_S9_PNS_15floating_traitsIS7_E6data_tEPKSD_
    .private_segment_fixed_size: 0
    .sgpr_count:     50
    .sgpr_spill_count: 0
    .symbol:         _ZN9rocsparseL19kernel_nrm_residualILi1024ELi2EfiiEEvT3_T2_PKS2_S4_PKS1_PKT1_21rocsparse_index_base_S4_S4_S6_S9_SA_S4_S4_S6_S9_SA_S9_PNS_15floating_traitsIS7_E6data_tEPKSD_.kd
    .uniform_work_group_size: 1
    .uses_dynamic_stack: false
    .vgpr_count:     37
    .vgpr_spill_count: 0
    .wavefront_size: 32
    .workgroup_processor_mode: 1
  - .args:
      - .offset:         0
        .size:           4
        .value_kind:     by_value
      - .offset:         4
        .size:           4
        .value_kind:     by_value
      - .actual_access:  read_only
        .address_space:  global
        .offset:         8
        .size:           8
        .value_kind:     global_buffer
      - .actual_access:  read_only
        .address_space:  global
        .offset:         16
        .size:           8
        .value_kind:     global_buffer
      - .actual_access:  read_only
        .address_space:  global
        .offset:         24
        .size:           8
        .value_kind:     global_buffer
      - .actual_access:  read_only
        .address_space:  global
        .offset:         32
        .size:           8
        .value_kind:     global_buffer
      - .offset:         40
        .size:           4
        .value_kind:     by_value
      - .actual_access:  read_only
        .address_space:  global
        .offset:         48
        .size:           8
        .value_kind:     global_buffer
      - .actual_access:  read_only
        .address_space:  global
        .offset:         56
        .size:           8
        .value_kind:     global_buffer
      - .actual_access:  read_only
        .address_space:  global
        .offset:         64
        .size:           8
        .value_kind:     global_buffer
      - .actual_access:  read_only
        .address_space:  global
        .offset:         72
        .size:           8
        .value_kind:     global_buffer
      - .offset:         80
        .size:           4
        .value_kind:     by_value
      - .actual_access:  read_only
        .address_space:  global
        .offset:         88
        .size:           8
        .value_kind:     global_buffer
      - .actual_access:  read_only
        .address_space:  global
        .offset:         96
        .size:           8
        .value_kind:     global_buffer
      - .actual_access:  read_only
        .address_space:  global
        .offset:         104
        .size:           8
        .value_kind:     global_buffer
      - .actual_access:  read_only
        .address_space:  global
        .offset:         112
        .size:           8
        .value_kind:     global_buffer
      - .offset:         120
        .size:           4
        .value_kind:     by_value
      - .actual_access:  read_only
        .address_space:  global
        .offset:         128
        .size:           8
        .value_kind:     global_buffer
      - .address_space:  global
        .offset:         136
        .size:           8
        .value_kind:     global_buffer
      - .actual_access:  read_only
        .address_space:  global
        .offset:         144
        .size:           8
        .value_kind:     global_buffer
    .group_segment_fixed_size: 1024
    .kernarg_segment_align: 8
    .kernarg_segment_size: 152
    .language:       OpenCL C
    .language_version:
      - 2
      - 0
    .max_flat_workgroup_size: 1024
    .name:           _ZN9rocsparseL19kernel_nrm_residualILi1024ELi4EfiiEEvT3_T2_PKS2_S4_PKS1_PKT1_21rocsparse_index_base_S4_S4_S6_S9_SA_S4_S4_S6_S9_SA_S9_PNS_15floating_traitsIS7_E6data_tEPKSD_
    .private_segment_fixed_size: 0
    .sgpr_count:     50
    .sgpr_spill_count: 0
    .symbol:         _ZN9rocsparseL19kernel_nrm_residualILi1024ELi4EfiiEEvT3_T2_PKS2_S4_PKS1_PKT1_21rocsparse_index_base_S4_S4_S6_S9_SA_S4_S4_S6_S9_SA_S9_PNS_15floating_traitsIS7_E6data_tEPKSD_.kd
    .uniform_work_group_size: 1
    .uses_dynamic_stack: false
    .vgpr_count:     37
    .vgpr_spill_count: 0
    .wavefront_size: 32
    .workgroup_processor_mode: 1
  - .args:
      - .offset:         0
        .size:           4
        .value_kind:     by_value
      - .offset:         4
        .size:           4
        .value_kind:     by_value
      - .actual_access:  read_only
        .address_space:  global
        .offset:         8
        .size:           8
        .value_kind:     global_buffer
      - .actual_access:  read_only
        .address_space:  global
        .offset:         16
        .size:           8
        .value_kind:     global_buffer
      - .actual_access:  read_only
        .address_space:  global
        .offset:         24
        .size:           8
        .value_kind:     global_buffer
      - .actual_access:  read_only
        .address_space:  global
        .offset:         32
        .size:           8
        .value_kind:     global_buffer
      - .offset:         40
        .size:           4
        .value_kind:     by_value
      - .actual_access:  read_only
        .address_space:  global
        .offset:         48
        .size:           8
        .value_kind:     global_buffer
      - .actual_access:  read_only
        .address_space:  global
        .offset:         56
        .size:           8
        .value_kind:     global_buffer
      - .actual_access:  read_only
        .address_space:  global
        .offset:         64
        .size:           8
        .value_kind:     global_buffer
      - .actual_access:  read_only
        .address_space:  global
        .offset:         72
        .size:           8
        .value_kind:     global_buffer
      - .offset:         80
        .size:           4
        .value_kind:     by_value
      - .actual_access:  read_only
        .address_space:  global
        .offset:         88
        .size:           8
        .value_kind:     global_buffer
      - .actual_access:  read_only
        .address_space:  global
        .offset:         96
        .size:           8
        .value_kind:     global_buffer
      - .actual_access:  read_only
        .address_space:  global
        .offset:         104
        .size:           8
        .value_kind:     global_buffer
      - .actual_access:  read_only
        .address_space:  global
        .offset:         112
        .size:           8
        .value_kind:     global_buffer
      - .offset:         120
        .size:           4
        .value_kind:     by_value
      - .actual_access:  read_only
        .address_space:  global
        .offset:         128
        .size:           8
        .value_kind:     global_buffer
      - .address_space:  global
        .offset:         136
        .size:           8
        .value_kind:     global_buffer
      - .actual_access:  read_only
        .address_space:  global
        .offset:         144
        .size:           8
        .value_kind:     global_buffer
    .group_segment_fixed_size: 512
    .kernarg_segment_align: 8
    .kernarg_segment_size: 152
    .language:       OpenCL C
    .language_version:
      - 2
      - 0
    .max_flat_workgroup_size: 1024
    .name:           _ZN9rocsparseL19kernel_nrm_residualILi1024ELi8EfiiEEvT3_T2_PKS2_S4_PKS1_PKT1_21rocsparse_index_base_S4_S4_S6_S9_SA_S4_S4_S6_S9_SA_S9_PNS_15floating_traitsIS7_E6data_tEPKSD_
    .private_segment_fixed_size: 0
    .sgpr_count:     50
    .sgpr_spill_count: 0
    .symbol:         _ZN9rocsparseL19kernel_nrm_residualILi1024ELi8EfiiEEvT3_T2_PKS2_S4_PKS1_PKT1_21rocsparse_index_base_S4_S4_S6_S9_SA_S4_S4_S6_S9_SA_S9_PNS_15floating_traitsIS7_E6data_tEPKSD_.kd
    .uniform_work_group_size: 1
    .uses_dynamic_stack: false
    .vgpr_count:     37
    .vgpr_spill_count: 0
    .wavefront_size: 32
    .workgroup_processor_mode: 1
  - .args:
      - .offset:         0
        .size:           4
        .value_kind:     by_value
      - .offset:         4
        .size:           4
        .value_kind:     by_value
      - .actual_access:  read_only
        .address_space:  global
        .offset:         8
        .size:           8
        .value_kind:     global_buffer
      - .actual_access:  read_only
        .address_space:  global
        .offset:         16
        .size:           8
        .value_kind:     global_buffer
      - .actual_access:  read_only
        .address_space:  global
        .offset:         24
        .size:           8
        .value_kind:     global_buffer
      - .actual_access:  read_only
        .address_space:  global
        .offset:         32
        .size:           8
        .value_kind:     global_buffer
      - .offset:         40
        .size:           4
        .value_kind:     by_value
      - .actual_access:  read_only
        .address_space:  global
        .offset:         48
        .size:           8
        .value_kind:     global_buffer
      - .actual_access:  read_only
        .address_space:  global
        .offset:         56
        .size:           8
        .value_kind:     global_buffer
      - .actual_access:  read_only
        .address_space:  global
        .offset:         64
        .size:           8
        .value_kind:     global_buffer
      - .actual_access:  read_only
        .address_space:  global
        .offset:         72
        .size:           8
        .value_kind:     global_buffer
      - .offset:         80
        .size:           4
        .value_kind:     by_value
      - .actual_access:  read_only
        .address_space:  global
        .offset:         88
        .size:           8
        .value_kind:     global_buffer
      - .actual_access:  read_only
        .address_space:  global
        .offset:         96
        .size:           8
        .value_kind:     global_buffer
      - .actual_access:  read_only
        .address_space:  global
        .offset:         104
        .size:           8
        .value_kind:     global_buffer
      - .actual_access:  read_only
        .address_space:  global
        .offset:         112
        .size:           8
        .value_kind:     global_buffer
      - .offset:         120
        .size:           4
        .value_kind:     by_value
      - .actual_access:  read_only
        .address_space:  global
        .offset:         128
        .size:           8
        .value_kind:     global_buffer
      - .address_space:  global
        .offset:         136
        .size:           8
        .value_kind:     global_buffer
      - .actual_access:  read_only
        .address_space:  global
        .offset:         144
        .size:           8
        .value_kind:     global_buffer
    .group_segment_fixed_size: 256
    .kernarg_segment_align: 8
    .kernarg_segment_size: 152
    .language:       OpenCL C
    .language_version:
      - 2
      - 0
    .max_flat_workgroup_size: 1024
    .name:           _ZN9rocsparseL19kernel_nrm_residualILi1024ELi16EfiiEEvT3_T2_PKS2_S4_PKS1_PKT1_21rocsparse_index_base_S4_S4_S6_S9_SA_S4_S4_S6_S9_SA_S9_PNS_15floating_traitsIS7_E6data_tEPKSD_
    .private_segment_fixed_size: 0
    .sgpr_count:     50
    .sgpr_spill_count: 0
    .symbol:         _ZN9rocsparseL19kernel_nrm_residualILi1024ELi16EfiiEEvT3_T2_PKS2_S4_PKS1_PKT1_21rocsparse_index_base_S4_S4_S6_S9_SA_S4_S4_S6_S9_SA_S9_PNS_15floating_traitsIS7_E6data_tEPKSD_.kd
    .uniform_work_group_size: 1
    .uses_dynamic_stack: false
    .vgpr_count:     37
    .vgpr_spill_count: 0
    .wavefront_size: 32
    .workgroup_processor_mode: 1
  - .args:
      - .offset:         0
        .size:           4
        .value_kind:     by_value
      - .offset:         4
        .size:           4
        .value_kind:     by_value
      - .actual_access:  read_only
        .address_space:  global
        .offset:         8
        .size:           8
        .value_kind:     global_buffer
      - .actual_access:  read_only
        .address_space:  global
        .offset:         16
        .size:           8
        .value_kind:     global_buffer
      - .actual_access:  read_only
        .address_space:  global
        .offset:         24
        .size:           8
        .value_kind:     global_buffer
      - .actual_access:  read_only
        .address_space:  global
        .offset:         32
        .size:           8
        .value_kind:     global_buffer
      - .offset:         40
        .size:           4
        .value_kind:     by_value
      - .actual_access:  read_only
        .address_space:  global
        .offset:         48
        .size:           8
        .value_kind:     global_buffer
      - .actual_access:  read_only
        .address_space:  global
        .offset:         56
        .size:           8
        .value_kind:     global_buffer
      - .actual_access:  read_only
        .address_space:  global
        .offset:         64
        .size:           8
        .value_kind:     global_buffer
      - .actual_access:  read_only
        .address_space:  global
        .offset:         72
        .size:           8
        .value_kind:     global_buffer
      - .offset:         80
        .size:           4
        .value_kind:     by_value
      - .actual_access:  read_only
        .address_space:  global
        .offset:         88
        .size:           8
        .value_kind:     global_buffer
      - .actual_access:  read_only
        .address_space:  global
        .offset:         96
        .size:           8
        .value_kind:     global_buffer
      - .actual_access:  read_only
        .address_space:  global
        .offset:         104
        .size:           8
        .value_kind:     global_buffer
      - .actual_access:  read_only
        .address_space:  global
        .offset:         112
        .size:           8
        .value_kind:     global_buffer
      - .offset:         120
        .size:           4
        .value_kind:     by_value
      - .actual_access:  read_only
        .address_space:  global
        .offset:         128
        .size:           8
        .value_kind:     global_buffer
      - .address_space:  global
        .offset:         136
        .size:           8
        .value_kind:     global_buffer
      - .actual_access:  read_only
        .address_space:  global
        .offset:         144
        .size:           8
        .value_kind:     global_buffer
    .group_segment_fixed_size: 128
    .kernarg_segment_align: 8
    .kernarg_segment_size: 152
    .language:       OpenCL C
    .language_version:
      - 2
      - 0
    .max_flat_workgroup_size: 1024
    .name:           _ZN9rocsparseL19kernel_nrm_residualILi1024ELi32EfiiEEvT3_T2_PKS2_S4_PKS1_PKT1_21rocsparse_index_base_S4_S4_S6_S9_SA_S4_S4_S6_S9_SA_S9_PNS_15floating_traitsIS7_E6data_tEPKSD_
    .private_segment_fixed_size: 0
    .sgpr_count:     50
    .sgpr_spill_count: 0
    .symbol:         _ZN9rocsparseL19kernel_nrm_residualILi1024ELi32EfiiEEvT3_T2_PKS2_S4_PKS1_PKT1_21rocsparse_index_base_S4_S4_S6_S9_SA_S4_S4_S6_S9_SA_S9_PNS_15floating_traitsIS7_E6data_tEPKSD_.kd
    .uniform_work_group_size: 1
    .uses_dynamic_stack: false
    .vgpr_count:     37
    .vgpr_spill_count: 0
    .wavefront_size: 32
    .workgroup_processor_mode: 1
  - .args:
      - .offset:         0
        .size:           4
        .value_kind:     by_value
      - .offset:         4
        .size:           4
        .value_kind:     by_value
      - .actual_access:  read_only
        .address_space:  global
        .offset:         8
        .size:           8
        .value_kind:     global_buffer
      - .actual_access:  read_only
        .address_space:  global
        .offset:         16
        .size:           8
        .value_kind:     global_buffer
      - .actual_access:  read_only
        .address_space:  global
        .offset:         24
        .size:           8
        .value_kind:     global_buffer
      - .actual_access:  read_only
        .address_space:  global
        .offset:         32
        .size:           8
        .value_kind:     global_buffer
      - .offset:         40
        .size:           4
        .value_kind:     by_value
      - .actual_access:  read_only
        .address_space:  global
        .offset:         48
        .size:           8
        .value_kind:     global_buffer
      - .actual_access:  read_only
        .address_space:  global
        .offset:         56
        .size:           8
        .value_kind:     global_buffer
      - .actual_access:  read_only
        .address_space:  global
        .offset:         64
        .size:           8
        .value_kind:     global_buffer
      - .actual_access:  read_only
        .address_space:  global
        .offset:         72
        .size:           8
        .value_kind:     global_buffer
      - .offset:         80
        .size:           4
        .value_kind:     by_value
      - .actual_access:  read_only
        .address_space:  global
        .offset:         88
        .size:           8
        .value_kind:     global_buffer
      - .actual_access:  read_only
        .address_space:  global
        .offset:         96
        .size:           8
        .value_kind:     global_buffer
      - .actual_access:  read_only
        .address_space:  global
        .offset:         104
        .size:           8
        .value_kind:     global_buffer
      - .actual_access:  read_only
        .address_space:  global
        .offset:         112
        .size:           8
        .value_kind:     global_buffer
      - .offset:         120
        .size:           4
        .value_kind:     by_value
      - .actual_access:  read_only
        .address_space:  global
        .offset:         128
        .size:           8
        .value_kind:     global_buffer
      - .address_space:  global
        .offset:         136
        .size:           8
        .value_kind:     global_buffer
      - .actual_access:  read_only
        .address_space:  global
        .offset:         144
        .size:           8
        .value_kind:     global_buffer
    .group_segment_fixed_size: 64
    .kernarg_segment_align: 8
    .kernarg_segment_size: 152
    .language:       OpenCL C
    .language_version:
      - 2
      - 0
    .max_flat_workgroup_size: 1024
    .name:           _ZN9rocsparseL19kernel_nrm_residualILi1024ELi64EfiiEEvT3_T2_PKS2_S4_PKS1_PKT1_21rocsparse_index_base_S4_S4_S6_S9_SA_S4_S4_S6_S9_SA_S9_PNS_15floating_traitsIS7_E6data_tEPKSD_
    .private_segment_fixed_size: 0
    .sgpr_count:     50
    .sgpr_spill_count: 0
    .symbol:         _ZN9rocsparseL19kernel_nrm_residualILi1024ELi64EfiiEEvT3_T2_PKS2_S4_PKS1_PKT1_21rocsparse_index_base_S4_S4_S6_S9_SA_S4_S4_S6_S9_SA_S9_PNS_15floating_traitsIS7_E6data_tEPKSD_.kd
    .uniform_work_group_size: 1
    .uses_dynamic_stack: false
    .vgpr_count:     37
    .vgpr_spill_count: 0
    .wavefront_size: 32
    .workgroup_processor_mode: 1
  - .args:
      - .offset:         0
        .size:           4
        .value_kind:     by_value
      - .offset:         4
        .size:           4
        .value_kind:     by_value
      - .actual_access:  read_only
        .address_space:  global
        .offset:         8
        .size:           8
        .value_kind:     global_buffer
      - .actual_access:  read_only
        .address_space:  global
        .offset:         16
        .size:           8
        .value_kind:     global_buffer
      - .actual_access:  read_only
        .address_space:  global
        .offset:         24
        .size:           8
        .value_kind:     global_buffer
      - .actual_access:  read_only
        .address_space:  global
        .offset:         32
        .size:           8
        .value_kind:     global_buffer
      - .offset:         40
        .size:           4
        .value_kind:     by_value
      - .actual_access:  read_only
        .address_space:  global
        .offset:         48
        .size:           8
        .value_kind:     global_buffer
      - .actual_access:  read_only
        .address_space:  global
        .offset:         56
        .size:           8
        .value_kind:     global_buffer
      - .actual_access:  read_only
        .address_space:  global
        .offset:         64
        .size:           8
        .value_kind:     global_buffer
      - .actual_access:  read_only
        .address_space:  global
        .offset:         72
        .size:           8
        .value_kind:     global_buffer
      - .actual_access:  write_only
        .address_space:  global
        .offset:         80
        .size:           8
        .value_kind:     global_buffer
      - .offset:         88
        .size:           4
        .value_kind:     by_value
      - .actual_access:  read_only
        .address_space:  global
        .offset:         96
        .size:           8
        .value_kind:     global_buffer
      - .actual_access:  read_only
        .address_space:  global
        .offset:         104
        .size:           8
        .value_kind:     global_buffer
      - .actual_access:  read_only
        .address_space:  global
        .offset:         112
        .size:           8
        .value_kind:     global_buffer
      - .actual_access:  read_only
        .address_space:  global
        .offset:         120
        .size:           8
        .value_kind:     global_buffer
      - .actual_access:  write_only
        .address_space:  global
        .offset:         128
        .size:           8
        .value_kind:     global_buffer
      - .offset:         136
        .size:           4
        .value_kind:     by_value
      - .actual_access:  read_only
        .address_space:  global
        .offset:         144
        .size:           8
        .value_kind:     global_buffer
      - .actual_access:  write_only
        .address_space:  global
        .offset:         152
        .size:           8
        .value_kind:     global_buffer
    .group_segment_fixed_size: 0
    .kernarg_segment_align: 8
    .kernarg_segment_size: 160
    .language:       OpenCL C
    .language_version:
      - 2
      - 0
    .max_flat_workgroup_size: 1024
    .name:           _ZN9rocsparseL17kernel_correctionILi1024ELi1EdiiEEvT3_T2_PKS2_S4_PKS1_PKT1_21rocsparse_index_base_S4_S4_S6_S9_PS7_SA_S4_S4_S6_S9_SB_SA_S9_SB_
    .private_segment_fixed_size: 0
    .sgpr_count:     54
    .sgpr_spill_count: 0
    .symbol:         _ZN9rocsparseL17kernel_correctionILi1024ELi1EdiiEEvT3_T2_PKS2_S4_PKS1_PKT1_21rocsparse_index_base_S4_S4_S6_S9_PS7_SA_S4_S4_S6_S9_SB_SA_S9_SB_.kd
    .uniform_work_group_size: 1
    .uses_dynamic_stack: false
    .vgpr_count:     30
    .vgpr_spill_count: 0
    .wavefront_size: 32
    .workgroup_processor_mode: 1
  - .args:
      - .offset:         0
        .size:           4
        .value_kind:     by_value
      - .offset:         4
        .size:           4
        .value_kind:     by_value
      - .actual_access:  read_only
        .address_space:  global
        .offset:         8
        .size:           8
        .value_kind:     global_buffer
      - .actual_access:  read_only
        .address_space:  global
        .offset:         16
        .size:           8
        .value_kind:     global_buffer
      - .actual_access:  read_only
        .address_space:  global
        .offset:         24
        .size:           8
        .value_kind:     global_buffer
      - .actual_access:  read_only
        .address_space:  global
        .offset:         32
        .size:           8
        .value_kind:     global_buffer
      - .offset:         40
        .size:           4
        .value_kind:     by_value
      - .actual_access:  read_only
        .address_space:  global
        .offset:         48
        .size:           8
        .value_kind:     global_buffer
      - .actual_access:  read_only
        .address_space:  global
        .offset:         56
        .size:           8
        .value_kind:     global_buffer
      - .actual_access:  read_only
        .address_space:  global
        .offset:         64
        .size:           8
        .value_kind:     global_buffer
      - .actual_access:  read_only
        .address_space:  global
        .offset:         72
        .size:           8
        .value_kind:     global_buffer
      - .actual_access:  write_only
        .address_space:  global
        .offset:         80
        .size:           8
        .value_kind:     global_buffer
      - .offset:         88
        .size:           4
        .value_kind:     by_value
      - .actual_access:  read_only
        .address_space:  global
        .offset:         96
        .size:           8
        .value_kind:     global_buffer
      - .actual_access:  read_only
        .address_space:  global
        .offset:         104
        .size:           8
        .value_kind:     global_buffer
      - .actual_access:  read_only
        .address_space:  global
        .offset:         112
        .size:           8
        .value_kind:     global_buffer
      - .actual_access:  read_only
        .address_space:  global
        .offset:         120
        .size:           8
        .value_kind:     global_buffer
      - .actual_access:  write_only
        .address_space:  global
        .offset:         128
        .size:           8
        .value_kind:     global_buffer
      - .offset:         136
        .size:           4
        .value_kind:     by_value
      - .actual_access:  read_only
        .address_space:  global
        .offset:         144
        .size:           8
        .value_kind:     global_buffer
      - .actual_access:  write_only
        .address_space:  global
        .offset:         152
        .size:           8
        .value_kind:     global_buffer
    .group_segment_fixed_size: 0
    .kernarg_segment_align: 8
    .kernarg_segment_size: 160
    .language:       OpenCL C
    .language_version:
      - 2
      - 0
    .max_flat_workgroup_size: 1024
    .name:           _ZN9rocsparseL17kernel_correctionILi1024ELi2EdiiEEvT3_T2_PKS2_S4_PKS1_PKT1_21rocsparse_index_base_S4_S4_S6_S9_PS7_SA_S4_S4_S6_S9_SB_SA_S9_SB_
    .private_segment_fixed_size: 0
    .sgpr_count:     54
    .sgpr_spill_count: 0
    .symbol:         _ZN9rocsparseL17kernel_correctionILi1024ELi2EdiiEEvT3_T2_PKS2_S4_PKS1_PKT1_21rocsparse_index_base_S4_S4_S6_S9_PS7_SA_S4_S4_S6_S9_SB_SA_S9_SB_.kd
    .uniform_work_group_size: 1
    .uses_dynamic_stack: false
    .vgpr_count:     31
    .vgpr_spill_count: 0
    .wavefront_size: 32
    .workgroup_processor_mode: 1
  - .args:
      - .offset:         0
        .size:           4
        .value_kind:     by_value
      - .offset:         4
        .size:           4
        .value_kind:     by_value
      - .actual_access:  read_only
        .address_space:  global
        .offset:         8
        .size:           8
        .value_kind:     global_buffer
      - .actual_access:  read_only
        .address_space:  global
        .offset:         16
        .size:           8
        .value_kind:     global_buffer
      - .actual_access:  read_only
        .address_space:  global
        .offset:         24
        .size:           8
        .value_kind:     global_buffer
      - .actual_access:  read_only
        .address_space:  global
        .offset:         32
        .size:           8
        .value_kind:     global_buffer
      - .offset:         40
        .size:           4
        .value_kind:     by_value
      - .actual_access:  read_only
        .address_space:  global
        .offset:         48
        .size:           8
        .value_kind:     global_buffer
      - .actual_access:  read_only
        .address_space:  global
        .offset:         56
        .size:           8
        .value_kind:     global_buffer
      - .actual_access:  read_only
        .address_space:  global
        .offset:         64
        .size:           8
        .value_kind:     global_buffer
      - .actual_access:  read_only
        .address_space:  global
        .offset:         72
        .size:           8
        .value_kind:     global_buffer
      - .actual_access:  write_only
        .address_space:  global
        .offset:         80
        .size:           8
        .value_kind:     global_buffer
      - .offset:         88
        .size:           4
        .value_kind:     by_value
      - .actual_access:  read_only
        .address_space:  global
        .offset:         96
        .size:           8
        .value_kind:     global_buffer
      - .actual_access:  read_only
        .address_space:  global
        .offset:         104
        .size:           8
        .value_kind:     global_buffer
      - .actual_access:  read_only
        .address_space:  global
        .offset:         112
        .size:           8
        .value_kind:     global_buffer
      - .actual_access:  read_only
        .address_space:  global
        .offset:         120
        .size:           8
        .value_kind:     global_buffer
      - .actual_access:  write_only
        .address_space:  global
        .offset:         128
        .size:           8
        .value_kind:     global_buffer
      - .offset:         136
        .size:           4
        .value_kind:     by_value
      - .actual_access:  read_only
        .address_space:  global
        .offset:         144
        .size:           8
        .value_kind:     global_buffer
      - .actual_access:  write_only
        .address_space:  global
        .offset:         152
        .size:           8
        .value_kind:     global_buffer
    .group_segment_fixed_size: 0
    .kernarg_segment_align: 8
    .kernarg_segment_size: 160
    .language:       OpenCL C
    .language_version:
      - 2
      - 0
    .max_flat_workgroup_size: 1024
    .name:           _ZN9rocsparseL17kernel_correctionILi1024ELi4EdiiEEvT3_T2_PKS2_S4_PKS1_PKT1_21rocsparse_index_base_S4_S4_S6_S9_PS7_SA_S4_S4_S6_S9_SB_SA_S9_SB_
    .private_segment_fixed_size: 0
    .sgpr_count:     54
    .sgpr_spill_count: 0
    .symbol:         _ZN9rocsparseL17kernel_correctionILi1024ELi4EdiiEEvT3_T2_PKS2_S4_PKS1_PKT1_21rocsparse_index_base_S4_S4_S6_S9_PS7_SA_S4_S4_S6_S9_SB_SA_S9_SB_.kd
    .uniform_work_group_size: 1
    .uses_dynamic_stack: false
    .vgpr_count:     31
    .vgpr_spill_count: 0
    .wavefront_size: 32
    .workgroup_processor_mode: 1
  - .args:
      - .offset:         0
        .size:           4
        .value_kind:     by_value
      - .offset:         4
        .size:           4
        .value_kind:     by_value
      - .actual_access:  read_only
        .address_space:  global
        .offset:         8
        .size:           8
        .value_kind:     global_buffer
      - .actual_access:  read_only
        .address_space:  global
        .offset:         16
        .size:           8
        .value_kind:     global_buffer
      - .actual_access:  read_only
        .address_space:  global
        .offset:         24
        .size:           8
        .value_kind:     global_buffer
      - .actual_access:  read_only
        .address_space:  global
        .offset:         32
        .size:           8
        .value_kind:     global_buffer
      - .offset:         40
        .size:           4
        .value_kind:     by_value
      - .actual_access:  read_only
        .address_space:  global
        .offset:         48
        .size:           8
        .value_kind:     global_buffer
      - .actual_access:  read_only
        .address_space:  global
        .offset:         56
        .size:           8
        .value_kind:     global_buffer
      - .actual_access:  read_only
        .address_space:  global
        .offset:         64
        .size:           8
        .value_kind:     global_buffer
      - .actual_access:  read_only
        .address_space:  global
        .offset:         72
        .size:           8
        .value_kind:     global_buffer
      - .actual_access:  write_only
        .address_space:  global
        .offset:         80
        .size:           8
        .value_kind:     global_buffer
      - .offset:         88
        .size:           4
        .value_kind:     by_value
      - .actual_access:  read_only
        .address_space:  global
        .offset:         96
        .size:           8
        .value_kind:     global_buffer
      - .actual_access:  read_only
        .address_space:  global
        .offset:         104
        .size:           8
        .value_kind:     global_buffer
      - .actual_access:  read_only
        .address_space:  global
        .offset:         112
        .size:           8
        .value_kind:     global_buffer
      - .actual_access:  read_only
        .address_space:  global
        .offset:         120
        .size:           8
        .value_kind:     global_buffer
      - .actual_access:  write_only
        .address_space:  global
        .offset:         128
        .size:           8
        .value_kind:     global_buffer
      - .offset:         136
        .size:           4
        .value_kind:     by_value
      - .actual_access:  read_only
        .address_space:  global
        .offset:         144
        .size:           8
        .value_kind:     global_buffer
      - .actual_access:  write_only
        .address_space:  global
        .offset:         152
        .size:           8
        .value_kind:     global_buffer
    .group_segment_fixed_size: 0
    .kernarg_segment_align: 8
    .kernarg_segment_size: 160
    .language:       OpenCL C
    .language_version:
      - 2
      - 0
    .max_flat_workgroup_size: 1024
    .name:           _ZN9rocsparseL17kernel_correctionILi1024ELi8EdiiEEvT3_T2_PKS2_S4_PKS1_PKT1_21rocsparse_index_base_S4_S4_S6_S9_PS7_SA_S4_S4_S6_S9_SB_SA_S9_SB_
    .private_segment_fixed_size: 0
    .sgpr_count:     54
    .sgpr_spill_count: 0
    .symbol:         _ZN9rocsparseL17kernel_correctionILi1024ELi8EdiiEEvT3_T2_PKS2_S4_PKS1_PKT1_21rocsparse_index_base_S4_S4_S6_S9_PS7_SA_S4_S4_S6_S9_SB_SA_S9_SB_.kd
    .uniform_work_group_size: 1
    .uses_dynamic_stack: false
    .vgpr_count:     31
    .vgpr_spill_count: 0
    .wavefront_size: 32
    .workgroup_processor_mode: 1
  - .args:
      - .offset:         0
        .size:           4
        .value_kind:     by_value
      - .offset:         4
        .size:           4
        .value_kind:     by_value
      - .actual_access:  read_only
        .address_space:  global
        .offset:         8
        .size:           8
        .value_kind:     global_buffer
      - .actual_access:  read_only
        .address_space:  global
        .offset:         16
        .size:           8
        .value_kind:     global_buffer
      - .actual_access:  read_only
        .address_space:  global
        .offset:         24
        .size:           8
        .value_kind:     global_buffer
      - .actual_access:  read_only
        .address_space:  global
        .offset:         32
        .size:           8
        .value_kind:     global_buffer
      - .offset:         40
        .size:           4
        .value_kind:     by_value
      - .actual_access:  read_only
        .address_space:  global
        .offset:         48
        .size:           8
        .value_kind:     global_buffer
      - .actual_access:  read_only
        .address_space:  global
        .offset:         56
        .size:           8
        .value_kind:     global_buffer
      - .actual_access:  read_only
        .address_space:  global
        .offset:         64
        .size:           8
        .value_kind:     global_buffer
      - .actual_access:  read_only
        .address_space:  global
        .offset:         72
        .size:           8
        .value_kind:     global_buffer
      - .actual_access:  write_only
        .address_space:  global
        .offset:         80
        .size:           8
        .value_kind:     global_buffer
      - .offset:         88
        .size:           4
        .value_kind:     by_value
      - .actual_access:  read_only
        .address_space:  global
        .offset:         96
        .size:           8
        .value_kind:     global_buffer
      - .actual_access:  read_only
        .address_space:  global
        .offset:         104
        .size:           8
        .value_kind:     global_buffer
      - .actual_access:  read_only
        .address_space:  global
        .offset:         112
        .size:           8
        .value_kind:     global_buffer
      - .actual_access:  read_only
        .address_space:  global
        .offset:         120
        .size:           8
        .value_kind:     global_buffer
      - .actual_access:  write_only
        .address_space:  global
        .offset:         128
        .size:           8
        .value_kind:     global_buffer
      - .offset:         136
        .size:           4
        .value_kind:     by_value
      - .actual_access:  read_only
        .address_space:  global
        .offset:         144
        .size:           8
        .value_kind:     global_buffer
      - .actual_access:  write_only
        .address_space:  global
        .offset:         152
        .size:           8
        .value_kind:     global_buffer
    .group_segment_fixed_size: 0
    .kernarg_segment_align: 8
    .kernarg_segment_size: 160
    .language:       OpenCL C
    .language_version:
      - 2
      - 0
    .max_flat_workgroup_size: 1024
    .name:           _ZN9rocsparseL17kernel_correctionILi1024ELi16EdiiEEvT3_T2_PKS2_S4_PKS1_PKT1_21rocsparse_index_base_S4_S4_S6_S9_PS7_SA_S4_S4_S6_S9_SB_SA_S9_SB_
    .private_segment_fixed_size: 0
    .sgpr_count:     54
    .sgpr_spill_count: 0
    .symbol:         _ZN9rocsparseL17kernel_correctionILi1024ELi16EdiiEEvT3_T2_PKS2_S4_PKS1_PKT1_21rocsparse_index_base_S4_S4_S6_S9_PS7_SA_S4_S4_S6_S9_SB_SA_S9_SB_.kd
    .uniform_work_group_size: 1
    .uses_dynamic_stack: false
    .vgpr_count:     31
    .vgpr_spill_count: 0
    .wavefront_size: 32
    .workgroup_processor_mode: 1
  - .args:
      - .offset:         0
        .size:           4
        .value_kind:     by_value
      - .offset:         4
        .size:           4
        .value_kind:     by_value
      - .actual_access:  read_only
        .address_space:  global
        .offset:         8
        .size:           8
        .value_kind:     global_buffer
      - .actual_access:  read_only
        .address_space:  global
        .offset:         16
        .size:           8
        .value_kind:     global_buffer
      - .actual_access:  read_only
        .address_space:  global
        .offset:         24
        .size:           8
        .value_kind:     global_buffer
      - .actual_access:  read_only
        .address_space:  global
        .offset:         32
        .size:           8
        .value_kind:     global_buffer
      - .offset:         40
        .size:           4
        .value_kind:     by_value
      - .actual_access:  read_only
        .address_space:  global
        .offset:         48
        .size:           8
        .value_kind:     global_buffer
      - .actual_access:  read_only
        .address_space:  global
        .offset:         56
        .size:           8
        .value_kind:     global_buffer
      - .actual_access:  read_only
        .address_space:  global
        .offset:         64
        .size:           8
        .value_kind:     global_buffer
      - .actual_access:  read_only
        .address_space:  global
        .offset:         72
        .size:           8
        .value_kind:     global_buffer
      - .actual_access:  write_only
        .address_space:  global
        .offset:         80
        .size:           8
        .value_kind:     global_buffer
      - .offset:         88
        .size:           4
        .value_kind:     by_value
      - .actual_access:  read_only
        .address_space:  global
        .offset:         96
        .size:           8
        .value_kind:     global_buffer
      - .actual_access:  read_only
        .address_space:  global
        .offset:         104
        .size:           8
        .value_kind:     global_buffer
      - .actual_access:  read_only
        .address_space:  global
        .offset:         112
        .size:           8
        .value_kind:     global_buffer
      - .actual_access:  read_only
        .address_space:  global
        .offset:         120
        .size:           8
        .value_kind:     global_buffer
      - .actual_access:  write_only
        .address_space:  global
        .offset:         128
        .size:           8
        .value_kind:     global_buffer
      - .offset:         136
        .size:           4
        .value_kind:     by_value
      - .actual_access:  read_only
        .address_space:  global
        .offset:         144
        .size:           8
        .value_kind:     global_buffer
      - .actual_access:  write_only
        .address_space:  global
        .offset:         152
        .size:           8
        .value_kind:     global_buffer
    .group_segment_fixed_size: 0
    .kernarg_segment_align: 8
    .kernarg_segment_size: 160
    .language:       OpenCL C
    .language_version:
      - 2
      - 0
    .max_flat_workgroup_size: 1024
    .name:           _ZN9rocsparseL17kernel_correctionILi1024ELi32EdiiEEvT3_T2_PKS2_S4_PKS1_PKT1_21rocsparse_index_base_S4_S4_S6_S9_PS7_SA_S4_S4_S6_S9_SB_SA_S9_SB_
    .private_segment_fixed_size: 0
    .sgpr_count:     54
    .sgpr_spill_count: 0
    .symbol:         _ZN9rocsparseL17kernel_correctionILi1024ELi32EdiiEEvT3_T2_PKS2_S4_PKS1_PKT1_21rocsparse_index_base_S4_S4_S6_S9_PS7_SA_S4_S4_S6_S9_SB_SA_S9_SB_.kd
    .uniform_work_group_size: 1
    .uses_dynamic_stack: false
    .vgpr_count:     31
    .vgpr_spill_count: 0
    .wavefront_size: 32
    .workgroup_processor_mode: 1
  - .args:
      - .offset:         0
        .size:           4
        .value_kind:     by_value
      - .offset:         4
        .size:           4
        .value_kind:     by_value
      - .actual_access:  read_only
        .address_space:  global
        .offset:         8
        .size:           8
        .value_kind:     global_buffer
      - .actual_access:  read_only
        .address_space:  global
        .offset:         16
        .size:           8
        .value_kind:     global_buffer
      - .actual_access:  read_only
        .address_space:  global
        .offset:         24
        .size:           8
        .value_kind:     global_buffer
      - .actual_access:  read_only
        .address_space:  global
        .offset:         32
        .size:           8
        .value_kind:     global_buffer
      - .offset:         40
        .size:           4
        .value_kind:     by_value
      - .actual_access:  read_only
        .address_space:  global
        .offset:         48
        .size:           8
        .value_kind:     global_buffer
      - .actual_access:  read_only
        .address_space:  global
        .offset:         56
        .size:           8
        .value_kind:     global_buffer
      - .actual_access:  read_only
        .address_space:  global
        .offset:         64
        .size:           8
        .value_kind:     global_buffer
      - .actual_access:  read_only
        .address_space:  global
        .offset:         72
        .size:           8
        .value_kind:     global_buffer
      - .actual_access:  write_only
        .address_space:  global
        .offset:         80
        .size:           8
        .value_kind:     global_buffer
      - .offset:         88
        .size:           4
        .value_kind:     by_value
      - .actual_access:  read_only
        .address_space:  global
        .offset:         96
        .size:           8
        .value_kind:     global_buffer
      - .actual_access:  read_only
        .address_space:  global
        .offset:         104
        .size:           8
        .value_kind:     global_buffer
      - .actual_access:  read_only
        .address_space:  global
        .offset:         112
        .size:           8
        .value_kind:     global_buffer
      - .actual_access:  read_only
        .address_space:  global
        .offset:         120
        .size:           8
        .value_kind:     global_buffer
      - .actual_access:  write_only
        .address_space:  global
        .offset:         128
        .size:           8
        .value_kind:     global_buffer
      - .offset:         136
        .size:           4
        .value_kind:     by_value
      - .actual_access:  read_only
        .address_space:  global
        .offset:         144
        .size:           8
        .value_kind:     global_buffer
      - .actual_access:  write_only
        .address_space:  global
        .offset:         152
        .size:           8
        .value_kind:     global_buffer
    .group_segment_fixed_size: 0
    .kernarg_segment_align: 8
    .kernarg_segment_size: 160
    .language:       OpenCL C
    .language_version:
      - 2
      - 0
    .max_flat_workgroup_size: 1024
    .name:           _ZN9rocsparseL17kernel_correctionILi1024ELi64EdiiEEvT3_T2_PKS2_S4_PKS1_PKT1_21rocsparse_index_base_S4_S4_S6_S9_PS7_SA_S4_S4_S6_S9_SB_SA_S9_SB_
    .private_segment_fixed_size: 0
    .sgpr_count:     54
    .sgpr_spill_count: 0
    .symbol:         _ZN9rocsparseL17kernel_correctionILi1024ELi64EdiiEEvT3_T2_PKS2_S4_PKS1_PKT1_21rocsparse_index_base_S4_S4_S6_S9_PS7_SA_S4_S4_S6_S9_SB_SA_S9_SB_.kd
    .uniform_work_group_size: 1
    .uses_dynamic_stack: false
    .vgpr_count:     31
    .vgpr_spill_count: 0
    .wavefront_size: 32
    .workgroup_processor_mode: 1
  - .args:
      - .offset:         0
        .size:           4
        .value_kind:     by_value
      - .offset:         4
        .size:           4
        .value_kind:     by_value
      - .actual_access:  read_only
        .address_space:  global
        .offset:         8
        .size:           8
        .value_kind:     global_buffer
      - .actual_access:  read_only
        .address_space:  global
        .offset:         16
        .size:           8
        .value_kind:     global_buffer
      - .actual_access:  read_only
        .address_space:  global
        .offset:         24
        .size:           8
        .value_kind:     global_buffer
      - .actual_access:  read_only
        .address_space:  global
        .offset:         32
        .size:           8
        .value_kind:     global_buffer
      - .offset:         40
        .size:           4
        .value_kind:     by_value
      - .actual_access:  read_only
        .address_space:  global
        .offset:         48
        .size:           8
        .value_kind:     global_buffer
      - .actual_access:  read_only
        .address_space:  global
        .offset:         56
        .size:           8
        .value_kind:     global_buffer
      - .actual_access:  read_only
        .address_space:  global
        .offset:         64
        .size:           8
        .value_kind:     global_buffer
      - .actual_access:  read_only
        .address_space:  global
        .offset:         72
        .size:           8
        .value_kind:     global_buffer
      - .offset:         80
        .size:           4
        .value_kind:     by_value
      - .actual_access:  read_only
        .address_space:  global
        .offset:         88
        .size:           8
        .value_kind:     global_buffer
      - .actual_access:  read_only
        .address_space:  global
        .offset:         96
        .size:           8
        .value_kind:     global_buffer
      - .actual_access:  read_only
        .address_space:  global
        .offset:         104
        .size:           8
        .value_kind:     global_buffer
      - .actual_access:  read_only
        .address_space:  global
        .offset:         112
        .size:           8
        .value_kind:     global_buffer
      - .offset:         120
        .size:           4
        .value_kind:     by_value
      - .actual_access:  read_only
        .address_space:  global
        .offset:         128
        .size:           8
        .value_kind:     global_buffer
      - .address_space:  global
        .offset:         136
        .size:           8
        .value_kind:     global_buffer
      - .actual_access:  read_only
        .address_space:  global
        .offset:         144
        .size:           8
        .value_kind:     global_buffer
    .group_segment_fixed_size: 8192
    .kernarg_segment_align: 8
    .kernarg_segment_size: 152
    .language:       OpenCL C
    .language_version:
      - 2
      - 0
    .max_flat_workgroup_size: 1024
    .name:           _ZN9rocsparseL19kernel_nrm_residualILi1024ELi1EdiiEEvT3_T2_PKS2_S4_PKS1_PKT1_21rocsparse_index_base_S4_S4_S6_S9_SA_S4_S4_S6_S9_SA_S9_PNS_15floating_traitsIS7_E6data_tEPKSD_
    .private_segment_fixed_size: 0
    .sgpr_count:     50
    .sgpr_spill_count: 0
    .symbol:         _ZN9rocsparseL19kernel_nrm_residualILi1024ELi1EdiiEEvT3_T2_PKS2_S4_PKS1_PKT1_21rocsparse_index_base_S4_S4_S6_S9_SA_S4_S4_S6_S9_SA_S9_PNS_15floating_traitsIS7_E6data_tEPKSD_.kd
    .uniform_work_group_size: 1
    .uses_dynamic_stack: false
    .vgpr_count:     33
    .vgpr_spill_count: 0
    .wavefront_size: 32
    .workgroup_processor_mode: 1
  - .args:
      - .offset:         0
        .size:           4
        .value_kind:     by_value
      - .offset:         4
        .size:           4
        .value_kind:     by_value
      - .actual_access:  read_only
        .address_space:  global
        .offset:         8
        .size:           8
        .value_kind:     global_buffer
      - .actual_access:  read_only
        .address_space:  global
        .offset:         16
        .size:           8
        .value_kind:     global_buffer
      - .actual_access:  read_only
        .address_space:  global
        .offset:         24
        .size:           8
        .value_kind:     global_buffer
      - .actual_access:  read_only
        .address_space:  global
        .offset:         32
        .size:           8
        .value_kind:     global_buffer
      - .offset:         40
        .size:           4
        .value_kind:     by_value
      - .actual_access:  read_only
        .address_space:  global
        .offset:         48
        .size:           8
        .value_kind:     global_buffer
      - .actual_access:  read_only
        .address_space:  global
        .offset:         56
        .size:           8
        .value_kind:     global_buffer
      - .actual_access:  read_only
        .address_space:  global
        .offset:         64
        .size:           8
        .value_kind:     global_buffer
      - .actual_access:  read_only
        .address_space:  global
        .offset:         72
        .size:           8
        .value_kind:     global_buffer
      - .offset:         80
        .size:           4
        .value_kind:     by_value
      - .actual_access:  read_only
        .address_space:  global
        .offset:         88
        .size:           8
        .value_kind:     global_buffer
      - .actual_access:  read_only
        .address_space:  global
        .offset:         96
        .size:           8
        .value_kind:     global_buffer
      - .actual_access:  read_only
        .address_space:  global
        .offset:         104
        .size:           8
        .value_kind:     global_buffer
      - .actual_access:  read_only
        .address_space:  global
        .offset:         112
        .size:           8
        .value_kind:     global_buffer
      - .offset:         120
        .size:           4
        .value_kind:     by_value
      - .actual_access:  read_only
        .address_space:  global
        .offset:         128
        .size:           8
        .value_kind:     global_buffer
      - .address_space:  global
        .offset:         136
        .size:           8
        .value_kind:     global_buffer
      - .actual_access:  read_only
        .address_space:  global
        .offset:         144
        .size:           8
        .value_kind:     global_buffer
    .group_segment_fixed_size: 4096
    .kernarg_segment_align: 8
    .kernarg_segment_size: 152
    .language:       OpenCL C
    .language_version:
      - 2
      - 0
    .max_flat_workgroup_size: 1024
    .name:           _ZN9rocsparseL19kernel_nrm_residualILi1024ELi2EdiiEEvT3_T2_PKS2_S4_PKS1_PKT1_21rocsparse_index_base_S4_S4_S6_S9_SA_S4_S4_S6_S9_SA_S9_PNS_15floating_traitsIS7_E6data_tEPKSD_
    .private_segment_fixed_size: 0
    .sgpr_count:     50
    .sgpr_spill_count: 0
    .symbol:         _ZN9rocsparseL19kernel_nrm_residualILi1024ELi2EdiiEEvT3_T2_PKS2_S4_PKS1_PKT1_21rocsparse_index_base_S4_S4_S6_S9_SA_S4_S4_S6_S9_SA_S9_PNS_15floating_traitsIS7_E6data_tEPKSD_.kd
    .uniform_work_group_size: 1
    .uses_dynamic_stack: false
    .vgpr_count:     36
    .vgpr_spill_count: 0
    .wavefront_size: 32
    .workgroup_processor_mode: 1
  - .args:
      - .offset:         0
        .size:           4
        .value_kind:     by_value
      - .offset:         4
        .size:           4
        .value_kind:     by_value
      - .actual_access:  read_only
        .address_space:  global
        .offset:         8
        .size:           8
        .value_kind:     global_buffer
      - .actual_access:  read_only
        .address_space:  global
        .offset:         16
        .size:           8
        .value_kind:     global_buffer
      - .actual_access:  read_only
        .address_space:  global
        .offset:         24
        .size:           8
        .value_kind:     global_buffer
      - .actual_access:  read_only
        .address_space:  global
        .offset:         32
        .size:           8
        .value_kind:     global_buffer
      - .offset:         40
        .size:           4
        .value_kind:     by_value
      - .actual_access:  read_only
        .address_space:  global
        .offset:         48
        .size:           8
        .value_kind:     global_buffer
      - .actual_access:  read_only
        .address_space:  global
        .offset:         56
        .size:           8
        .value_kind:     global_buffer
      - .actual_access:  read_only
        .address_space:  global
        .offset:         64
        .size:           8
        .value_kind:     global_buffer
      - .actual_access:  read_only
        .address_space:  global
        .offset:         72
        .size:           8
        .value_kind:     global_buffer
      - .offset:         80
        .size:           4
        .value_kind:     by_value
      - .actual_access:  read_only
        .address_space:  global
        .offset:         88
        .size:           8
        .value_kind:     global_buffer
      - .actual_access:  read_only
        .address_space:  global
        .offset:         96
        .size:           8
        .value_kind:     global_buffer
      - .actual_access:  read_only
        .address_space:  global
        .offset:         104
        .size:           8
        .value_kind:     global_buffer
      - .actual_access:  read_only
        .address_space:  global
        .offset:         112
        .size:           8
        .value_kind:     global_buffer
      - .offset:         120
        .size:           4
        .value_kind:     by_value
      - .actual_access:  read_only
        .address_space:  global
        .offset:         128
        .size:           8
        .value_kind:     global_buffer
      - .address_space:  global
        .offset:         136
        .size:           8
        .value_kind:     global_buffer
      - .actual_access:  read_only
        .address_space:  global
        .offset:         144
        .size:           8
        .value_kind:     global_buffer
    .group_segment_fixed_size: 2048
    .kernarg_segment_align: 8
    .kernarg_segment_size: 152
    .language:       OpenCL C
    .language_version:
      - 2
      - 0
    .max_flat_workgroup_size: 1024
    .name:           _ZN9rocsparseL19kernel_nrm_residualILi1024ELi4EdiiEEvT3_T2_PKS2_S4_PKS1_PKT1_21rocsparse_index_base_S4_S4_S6_S9_SA_S4_S4_S6_S9_SA_S9_PNS_15floating_traitsIS7_E6data_tEPKSD_
    .private_segment_fixed_size: 0
    .sgpr_count:     50
    .sgpr_spill_count: 0
    .symbol:         _ZN9rocsparseL19kernel_nrm_residualILi1024ELi4EdiiEEvT3_T2_PKS2_S4_PKS1_PKT1_21rocsparse_index_base_S4_S4_S6_S9_SA_S4_S4_S6_S9_SA_S9_PNS_15floating_traitsIS7_E6data_tEPKSD_.kd
    .uniform_work_group_size: 1
    .uses_dynamic_stack: false
    .vgpr_count:     36
    .vgpr_spill_count: 0
    .wavefront_size: 32
    .workgroup_processor_mode: 1
  - .args:
      - .offset:         0
        .size:           4
        .value_kind:     by_value
      - .offset:         4
        .size:           4
        .value_kind:     by_value
      - .actual_access:  read_only
        .address_space:  global
        .offset:         8
        .size:           8
        .value_kind:     global_buffer
      - .actual_access:  read_only
        .address_space:  global
        .offset:         16
        .size:           8
        .value_kind:     global_buffer
      - .actual_access:  read_only
        .address_space:  global
        .offset:         24
        .size:           8
        .value_kind:     global_buffer
      - .actual_access:  read_only
        .address_space:  global
        .offset:         32
        .size:           8
        .value_kind:     global_buffer
      - .offset:         40
        .size:           4
        .value_kind:     by_value
      - .actual_access:  read_only
        .address_space:  global
        .offset:         48
        .size:           8
        .value_kind:     global_buffer
      - .actual_access:  read_only
        .address_space:  global
        .offset:         56
        .size:           8
        .value_kind:     global_buffer
      - .actual_access:  read_only
        .address_space:  global
        .offset:         64
        .size:           8
        .value_kind:     global_buffer
      - .actual_access:  read_only
        .address_space:  global
        .offset:         72
        .size:           8
        .value_kind:     global_buffer
      - .offset:         80
        .size:           4
        .value_kind:     by_value
      - .actual_access:  read_only
        .address_space:  global
        .offset:         88
        .size:           8
        .value_kind:     global_buffer
      - .actual_access:  read_only
        .address_space:  global
        .offset:         96
        .size:           8
        .value_kind:     global_buffer
      - .actual_access:  read_only
        .address_space:  global
        .offset:         104
        .size:           8
        .value_kind:     global_buffer
      - .actual_access:  read_only
        .address_space:  global
        .offset:         112
        .size:           8
        .value_kind:     global_buffer
      - .offset:         120
        .size:           4
        .value_kind:     by_value
      - .actual_access:  read_only
        .address_space:  global
        .offset:         128
        .size:           8
        .value_kind:     global_buffer
      - .address_space:  global
        .offset:         136
        .size:           8
        .value_kind:     global_buffer
      - .actual_access:  read_only
        .address_space:  global
        .offset:         144
        .size:           8
        .value_kind:     global_buffer
    .group_segment_fixed_size: 1024
    .kernarg_segment_align: 8
    .kernarg_segment_size: 152
    .language:       OpenCL C
    .language_version:
      - 2
      - 0
    .max_flat_workgroup_size: 1024
    .name:           _ZN9rocsparseL19kernel_nrm_residualILi1024ELi8EdiiEEvT3_T2_PKS2_S4_PKS1_PKT1_21rocsparse_index_base_S4_S4_S6_S9_SA_S4_S4_S6_S9_SA_S9_PNS_15floating_traitsIS7_E6data_tEPKSD_
    .private_segment_fixed_size: 0
    .sgpr_count:     50
    .sgpr_spill_count: 0
    .symbol:         _ZN9rocsparseL19kernel_nrm_residualILi1024ELi8EdiiEEvT3_T2_PKS2_S4_PKS1_PKT1_21rocsparse_index_base_S4_S4_S6_S9_SA_S4_S4_S6_S9_SA_S9_PNS_15floating_traitsIS7_E6data_tEPKSD_.kd
    .uniform_work_group_size: 1
    .uses_dynamic_stack: false
    .vgpr_count:     36
    .vgpr_spill_count: 0
    .wavefront_size: 32
    .workgroup_processor_mode: 1
  - .args:
      - .offset:         0
        .size:           4
        .value_kind:     by_value
      - .offset:         4
        .size:           4
        .value_kind:     by_value
      - .actual_access:  read_only
        .address_space:  global
        .offset:         8
        .size:           8
        .value_kind:     global_buffer
      - .actual_access:  read_only
        .address_space:  global
        .offset:         16
        .size:           8
        .value_kind:     global_buffer
      - .actual_access:  read_only
        .address_space:  global
        .offset:         24
        .size:           8
        .value_kind:     global_buffer
      - .actual_access:  read_only
        .address_space:  global
        .offset:         32
        .size:           8
        .value_kind:     global_buffer
      - .offset:         40
        .size:           4
        .value_kind:     by_value
      - .actual_access:  read_only
        .address_space:  global
        .offset:         48
        .size:           8
        .value_kind:     global_buffer
      - .actual_access:  read_only
        .address_space:  global
        .offset:         56
        .size:           8
        .value_kind:     global_buffer
      - .actual_access:  read_only
        .address_space:  global
        .offset:         64
        .size:           8
        .value_kind:     global_buffer
      - .actual_access:  read_only
        .address_space:  global
        .offset:         72
        .size:           8
        .value_kind:     global_buffer
      - .offset:         80
        .size:           4
        .value_kind:     by_value
      - .actual_access:  read_only
        .address_space:  global
        .offset:         88
        .size:           8
        .value_kind:     global_buffer
      - .actual_access:  read_only
        .address_space:  global
        .offset:         96
        .size:           8
        .value_kind:     global_buffer
      - .actual_access:  read_only
        .address_space:  global
        .offset:         104
        .size:           8
        .value_kind:     global_buffer
      - .actual_access:  read_only
        .address_space:  global
        .offset:         112
        .size:           8
        .value_kind:     global_buffer
      - .offset:         120
        .size:           4
        .value_kind:     by_value
      - .actual_access:  read_only
        .address_space:  global
        .offset:         128
        .size:           8
        .value_kind:     global_buffer
      - .address_space:  global
        .offset:         136
        .size:           8
        .value_kind:     global_buffer
      - .actual_access:  read_only
        .address_space:  global
        .offset:         144
        .size:           8
        .value_kind:     global_buffer
    .group_segment_fixed_size: 512
    .kernarg_segment_align: 8
    .kernarg_segment_size: 152
    .language:       OpenCL C
    .language_version:
      - 2
      - 0
    .max_flat_workgroup_size: 1024
    .name:           _ZN9rocsparseL19kernel_nrm_residualILi1024ELi16EdiiEEvT3_T2_PKS2_S4_PKS1_PKT1_21rocsparse_index_base_S4_S4_S6_S9_SA_S4_S4_S6_S9_SA_S9_PNS_15floating_traitsIS7_E6data_tEPKSD_
    .private_segment_fixed_size: 0
    .sgpr_count:     50
    .sgpr_spill_count: 0
    .symbol:         _ZN9rocsparseL19kernel_nrm_residualILi1024ELi16EdiiEEvT3_T2_PKS2_S4_PKS1_PKT1_21rocsparse_index_base_S4_S4_S6_S9_SA_S4_S4_S6_S9_SA_S9_PNS_15floating_traitsIS7_E6data_tEPKSD_.kd
    .uniform_work_group_size: 1
    .uses_dynamic_stack: false
    .vgpr_count:     36
    .vgpr_spill_count: 0
    .wavefront_size: 32
    .workgroup_processor_mode: 1
  - .args:
      - .offset:         0
        .size:           4
        .value_kind:     by_value
      - .offset:         4
        .size:           4
        .value_kind:     by_value
      - .actual_access:  read_only
        .address_space:  global
        .offset:         8
        .size:           8
        .value_kind:     global_buffer
      - .actual_access:  read_only
        .address_space:  global
        .offset:         16
        .size:           8
        .value_kind:     global_buffer
      - .actual_access:  read_only
        .address_space:  global
        .offset:         24
        .size:           8
        .value_kind:     global_buffer
      - .actual_access:  read_only
        .address_space:  global
        .offset:         32
        .size:           8
        .value_kind:     global_buffer
      - .offset:         40
        .size:           4
        .value_kind:     by_value
      - .actual_access:  read_only
        .address_space:  global
        .offset:         48
        .size:           8
        .value_kind:     global_buffer
      - .actual_access:  read_only
        .address_space:  global
        .offset:         56
        .size:           8
        .value_kind:     global_buffer
      - .actual_access:  read_only
        .address_space:  global
        .offset:         64
        .size:           8
        .value_kind:     global_buffer
      - .actual_access:  read_only
        .address_space:  global
        .offset:         72
        .size:           8
        .value_kind:     global_buffer
      - .offset:         80
        .size:           4
        .value_kind:     by_value
      - .actual_access:  read_only
        .address_space:  global
        .offset:         88
        .size:           8
        .value_kind:     global_buffer
      - .actual_access:  read_only
        .address_space:  global
        .offset:         96
        .size:           8
        .value_kind:     global_buffer
      - .actual_access:  read_only
        .address_space:  global
        .offset:         104
        .size:           8
        .value_kind:     global_buffer
      - .actual_access:  read_only
        .address_space:  global
        .offset:         112
        .size:           8
        .value_kind:     global_buffer
      - .offset:         120
        .size:           4
        .value_kind:     by_value
      - .actual_access:  read_only
        .address_space:  global
        .offset:         128
        .size:           8
        .value_kind:     global_buffer
      - .address_space:  global
        .offset:         136
        .size:           8
        .value_kind:     global_buffer
      - .actual_access:  read_only
        .address_space:  global
        .offset:         144
        .size:           8
        .value_kind:     global_buffer
    .group_segment_fixed_size: 256
    .kernarg_segment_align: 8
    .kernarg_segment_size: 152
    .language:       OpenCL C
    .language_version:
      - 2
      - 0
    .max_flat_workgroup_size: 1024
    .name:           _ZN9rocsparseL19kernel_nrm_residualILi1024ELi32EdiiEEvT3_T2_PKS2_S4_PKS1_PKT1_21rocsparse_index_base_S4_S4_S6_S9_SA_S4_S4_S6_S9_SA_S9_PNS_15floating_traitsIS7_E6data_tEPKSD_
    .private_segment_fixed_size: 0
    .sgpr_count:     50
    .sgpr_spill_count: 0
    .symbol:         _ZN9rocsparseL19kernel_nrm_residualILi1024ELi32EdiiEEvT3_T2_PKS2_S4_PKS1_PKT1_21rocsparse_index_base_S4_S4_S6_S9_SA_S4_S4_S6_S9_SA_S9_PNS_15floating_traitsIS7_E6data_tEPKSD_.kd
    .uniform_work_group_size: 1
    .uses_dynamic_stack: false
    .vgpr_count:     36
    .vgpr_spill_count: 0
    .wavefront_size: 32
    .workgroup_processor_mode: 1
  - .args:
      - .offset:         0
        .size:           4
        .value_kind:     by_value
      - .offset:         4
        .size:           4
        .value_kind:     by_value
      - .actual_access:  read_only
        .address_space:  global
        .offset:         8
        .size:           8
        .value_kind:     global_buffer
      - .actual_access:  read_only
        .address_space:  global
        .offset:         16
        .size:           8
        .value_kind:     global_buffer
      - .actual_access:  read_only
        .address_space:  global
        .offset:         24
        .size:           8
        .value_kind:     global_buffer
      - .actual_access:  read_only
        .address_space:  global
        .offset:         32
        .size:           8
        .value_kind:     global_buffer
      - .offset:         40
        .size:           4
        .value_kind:     by_value
      - .actual_access:  read_only
        .address_space:  global
        .offset:         48
        .size:           8
        .value_kind:     global_buffer
      - .actual_access:  read_only
        .address_space:  global
        .offset:         56
        .size:           8
        .value_kind:     global_buffer
      - .actual_access:  read_only
        .address_space:  global
        .offset:         64
        .size:           8
        .value_kind:     global_buffer
      - .actual_access:  read_only
        .address_space:  global
        .offset:         72
        .size:           8
        .value_kind:     global_buffer
      - .offset:         80
        .size:           4
        .value_kind:     by_value
      - .actual_access:  read_only
        .address_space:  global
        .offset:         88
        .size:           8
        .value_kind:     global_buffer
      - .actual_access:  read_only
        .address_space:  global
        .offset:         96
        .size:           8
        .value_kind:     global_buffer
      - .actual_access:  read_only
        .address_space:  global
        .offset:         104
        .size:           8
        .value_kind:     global_buffer
      - .actual_access:  read_only
        .address_space:  global
        .offset:         112
        .size:           8
        .value_kind:     global_buffer
      - .offset:         120
        .size:           4
        .value_kind:     by_value
      - .actual_access:  read_only
        .address_space:  global
        .offset:         128
        .size:           8
        .value_kind:     global_buffer
      - .address_space:  global
        .offset:         136
        .size:           8
        .value_kind:     global_buffer
      - .actual_access:  read_only
        .address_space:  global
        .offset:         144
        .size:           8
        .value_kind:     global_buffer
    .group_segment_fixed_size: 128
    .kernarg_segment_align: 8
    .kernarg_segment_size: 152
    .language:       OpenCL C
    .language_version:
      - 2
      - 0
    .max_flat_workgroup_size: 1024
    .name:           _ZN9rocsparseL19kernel_nrm_residualILi1024ELi64EdiiEEvT3_T2_PKS2_S4_PKS1_PKT1_21rocsparse_index_base_S4_S4_S6_S9_SA_S4_S4_S6_S9_SA_S9_PNS_15floating_traitsIS7_E6data_tEPKSD_
    .private_segment_fixed_size: 0
    .sgpr_count:     50
    .sgpr_spill_count: 0
    .symbol:         _ZN9rocsparseL19kernel_nrm_residualILi1024ELi64EdiiEEvT3_T2_PKS2_S4_PKS1_PKT1_21rocsparse_index_base_S4_S4_S6_S9_SA_S4_S4_S6_S9_SA_S9_PNS_15floating_traitsIS7_E6data_tEPKSD_.kd
    .uniform_work_group_size: 1
    .uses_dynamic_stack: false
    .vgpr_count:     36
    .vgpr_spill_count: 0
    .wavefront_size: 32
    .workgroup_processor_mode: 1
  - .args:
      - .offset:         0
        .size:           4
        .value_kind:     by_value
      - .offset:         4
        .size:           4
        .value_kind:     by_value
      - .actual_access:  read_only
        .address_space:  global
        .offset:         8
        .size:           8
        .value_kind:     global_buffer
      - .actual_access:  read_only
        .address_space:  global
        .offset:         16
        .size:           8
        .value_kind:     global_buffer
      - .actual_access:  read_only
        .address_space:  global
        .offset:         24
        .size:           8
        .value_kind:     global_buffer
      - .actual_access:  read_only
        .address_space:  global
        .offset:         32
        .size:           8
        .value_kind:     global_buffer
      - .offset:         40
        .size:           4
        .value_kind:     by_value
      - .actual_access:  read_only
        .address_space:  global
        .offset:         48
        .size:           8
        .value_kind:     global_buffer
      - .actual_access:  read_only
        .address_space:  global
        .offset:         56
        .size:           8
        .value_kind:     global_buffer
      - .actual_access:  read_only
        .address_space:  global
        .offset:         64
        .size:           8
        .value_kind:     global_buffer
      - .actual_access:  read_only
        .address_space:  global
        .offset:         72
        .size:           8
        .value_kind:     global_buffer
      - .actual_access:  write_only
        .address_space:  global
        .offset:         80
        .size:           8
        .value_kind:     global_buffer
      - .offset:         88
        .size:           4
        .value_kind:     by_value
      - .actual_access:  read_only
        .address_space:  global
        .offset:         96
        .size:           8
        .value_kind:     global_buffer
      - .actual_access:  read_only
        .address_space:  global
        .offset:         104
        .size:           8
        .value_kind:     global_buffer
      - .actual_access:  read_only
        .address_space:  global
        .offset:         112
        .size:           8
        .value_kind:     global_buffer
      - .actual_access:  read_only
        .address_space:  global
        .offset:         120
        .size:           8
        .value_kind:     global_buffer
      - .actual_access:  write_only
        .address_space:  global
        .offset:         128
        .size:           8
        .value_kind:     global_buffer
      - .offset:         136
        .size:           4
        .value_kind:     by_value
      - .actual_access:  read_only
        .address_space:  global
        .offset:         144
        .size:           8
        .value_kind:     global_buffer
      - .actual_access:  write_only
        .address_space:  global
        .offset:         152
        .size:           8
        .value_kind:     global_buffer
    .group_segment_fixed_size: 0
    .kernarg_segment_align: 8
    .kernarg_segment_size: 160
    .language:       OpenCL C
    .language_version:
      - 2
      - 0
    .max_flat_workgroup_size: 1024
    .name:           _ZN9rocsparseL17kernel_correctionILi1024ELi1E21rocsparse_complex_numIfEiiEEvT3_T2_PKS4_S6_PKS3_PKT1_21rocsparse_index_base_S6_S6_S8_SB_PS9_SC_S6_S6_S8_SB_SD_SC_SB_SD_
    .private_segment_fixed_size: 0
    .sgpr_count:     55
    .sgpr_spill_count: 0
    .symbol:         _ZN9rocsparseL17kernel_correctionILi1024ELi1E21rocsparse_complex_numIfEiiEEvT3_T2_PKS4_S6_PKS3_PKT1_21rocsparse_index_base_S6_S6_S8_SB_PS9_SC_S6_S6_S8_SB_SD_SC_SB_SD_.kd
    .uniform_work_group_size: 1
    .uses_dynamic_stack: false
    .vgpr_count:     30
    .vgpr_spill_count: 0
    .wavefront_size: 32
    .workgroup_processor_mode: 1
  - .args:
      - .offset:         0
        .size:           4
        .value_kind:     by_value
      - .offset:         4
        .size:           4
        .value_kind:     by_value
      - .actual_access:  read_only
        .address_space:  global
        .offset:         8
        .size:           8
        .value_kind:     global_buffer
      - .actual_access:  read_only
        .address_space:  global
        .offset:         16
        .size:           8
        .value_kind:     global_buffer
      - .actual_access:  read_only
        .address_space:  global
        .offset:         24
        .size:           8
        .value_kind:     global_buffer
      - .actual_access:  read_only
        .address_space:  global
        .offset:         32
        .size:           8
        .value_kind:     global_buffer
      - .offset:         40
        .size:           4
        .value_kind:     by_value
      - .actual_access:  read_only
        .address_space:  global
        .offset:         48
        .size:           8
        .value_kind:     global_buffer
      - .actual_access:  read_only
        .address_space:  global
        .offset:         56
        .size:           8
        .value_kind:     global_buffer
      - .actual_access:  read_only
        .address_space:  global
        .offset:         64
        .size:           8
        .value_kind:     global_buffer
      - .actual_access:  read_only
        .address_space:  global
        .offset:         72
        .size:           8
        .value_kind:     global_buffer
      - .actual_access:  write_only
        .address_space:  global
        .offset:         80
        .size:           8
        .value_kind:     global_buffer
      - .offset:         88
        .size:           4
        .value_kind:     by_value
      - .actual_access:  read_only
        .address_space:  global
        .offset:         96
        .size:           8
        .value_kind:     global_buffer
      - .actual_access:  read_only
        .address_space:  global
        .offset:         104
        .size:           8
        .value_kind:     global_buffer
      - .actual_access:  read_only
        .address_space:  global
        .offset:         112
        .size:           8
        .value_kind:     global_buffer
      - .actual_access:  read_only
        .address_space:  global
        .offset:         120
        .size:           8
        .value_kind:     global_buffer
      - .actual_access:  write_only
        .address_space:  global
        .offset:         128
        .size:           8
        .value_kind:     global_buffer
      - .offset:         136
        .size:           4
        .value_kind:     by_value
      - .actual_access:  read_only
        .address_space:  global
        .offset:         144
        .size:           8
        .value_kind:     global_buffer
      - .actual_access:  write_only
        .address_space:  global
        .offset:         152
        .size:           8
        .value_kind:     global_buffer
    .group_segment_fixed_size: 0
    .kernarg_segment_align: 8
    .kernarg_segment_size: 160
    .language:       OpenCL C
    .language_version:
      - 2
      - 0
    .max_flat_workgroup_size: 1024
    .name:           _ZN9rocsparseL17kernel_correctionILi1024ELi2E21rocsparse_complex_numIfEiiEEvT3_T2_PKS4_S6_PKS3_PKT1_21rocsparse_index_base_S6_S6_S8_SB_PS9_SC_S6_S6_S8_SB_SD_SC_SB_SD_
    .private_segment_fixed_size: 0
    .sgpr_count:     55
    .sgpr_spill_count: 0
    .symbol:         _ZN9rocsparseL17kernel_correctionILi1024ELi2E21rocsparse_complex_numIfEiiEEvT3_T2_PKS4_S6_PKS3_PKT1_21rocsparse_index_base_S6_S6_S8_SB_PS9_SC_S6_S6_S8_SB_SD_SC_SB_SD_.kd
    .uniform_work_group_size: 1
    .uses_dynamic_stack: false
    .vgpr_count:     31
    .vgpr_spill_count: 0
    .wavefront_size: 32
    .workgroup_processor_mode: 1
  - .args:
      - .offset:         0
        .size:           4
        .value_kind:     by_value
      - .offset:         4
        .size:           4
        .value_kind:     by_value
      - .actual_access:  read_only
        .address_space:  global
        .offset:         8
        .size:           8
        .value_kind:     global_buffer
      - .actual_access:  read_only
        .address_space:  global
        .offset:         16
        .size:           8
        .value_kind:     global_buffer
      - .actual_access:  read_only
        .address_space:  global
        .offset:         24
        .size:           8
        .value_kind:     global_buffer
      - .actual_access:  read_only
        .address_space:  global
        .offset:         32
        .size:           8
        .value_kind:     global_buffer
      - .offset:         40
        .size:           4
        .value_kind:     by_value
      - .actual_access:  read_only
        .address_space:  global
        .offset:         48
        .size:           8
        .value_kind:     global_buffer
      - .actual_access:  read_only
        .address_space:  global
        .offset:         56
        .size:           8
        .value_kind:     global_buffer
      - .actual_access:  read_only
        .address_space:  global
        .offset:         64
        .size:           8
        .value_kind:     global_buffer
      - .actual_access:  read_only
        .address_space:  global
        .offset:         72
        .size:           8
        .value_kind:     global_buffer
      - .actual_access:  write_only
        .address_space:  global
        .offset:         80
        .size:           8
        .value_kind:     global_buffer
      - .offset:         88
        .size:           4
        .value_kind:     by_value
      - .actual_access:  read_only
        .address_space:  global
        .offset:         96
        .size:           8
        .value_kind:     global_buffer
      - .actual_access:  read_only
        .address_space:  global
        .offset:         104
        .size:           8
        .value_kind:     global_buffer
      - .actual_access:  read_only
        .address_space:  global
        .offset:         112
        .size:           8
        .value_kind:     global_buffer
      - .actual_access:  read_only
        .address_space:  global
        .offset:         120
        .size:           8
        .value_kind:     global_buffer
      - .actual_access:  write_only
        .address_space:  global
        .offset:         128
        .size:           8
        .value_kind:     global_buffer
      - .offset:         136
        .size:           4
        .value_kind:     by_value
      - .actual_access:  read_only
        .address_space:  global
        .offset:         144
        .size:           8
        .value_kind:     global_buffer
      - .actual_access:  write_only
        .address_space:  global
        .offset:         152
        .size:           8
        .value_kind:     global_buffer
    .group_segment_fixed_size: 0
    .kernarg_segment_align: 8
    .kernarg_segment_size: 160
    .language:       OpenCL C
    .language_version:
      - 2
      - 0
    .max_flat_workgroup_size: 1024
    .name:           _ZN9rocsparseL17kernel_correctionILi1024ELi4E21rocsparse_complex_numIfEiiEEvT3_T2_PKS4_S6_PKS3_PKT1_21rocsparse_index_base_S6_S6_S8_SB_PS9_SC_S6_S6_S8_SB_SD_SC_SB_SD_
    .private_segment_fixed_size: 0
    .sgpr_count:     55
    .sgpr_spill_count: 0
    .symbol:         _ZN9rocsparseL17kernel_correctionILi1024ELi4E21rocsparse_complex_numIfEiiEEvT3_T2_PKS4_S6_PKS3_PKT1_21rocsparse_index_base_S6_S6_S8_SB_PS9_SC_S6_S6_S8_SB_SD_SC_SB_SD_.kd
    .uniform_work_group_size: 1
    .uses_dynamic_stack: false
    .vgpr_count:     31
    .vgpr_spill_count: 0
    .wavefront_size: 32
    .workgroup_processor_mode: 1
  - .args:
      - .offset:         0
        .size:           4
        .value_kind:     by_value
      - .offset:         4
        .size:           4
        .value_kind:     by_value
      - .actual_access:  read_only
        .address_space:  global
        .offset:         8
        .size:           8
        .value_kind:     global_buffer
      - .actual_access:  read_only
        .address_space:  global
        .offset:         16
        .size:           8
        .value_kind:     global_buffer
      - .actual_access:  read_only
        .address_space:  global
        .offset:         24
        .size:           8
        .value_kind:     global_buffer
      - .actual_access:  read_only
        .address_space:  global
        .offset:         32
        .size:           8
        .value_kind:     global_buffer
      - .offset:         40
        .size:           4
        .value_kind:     by_value
      - .actual_access:  read_only
        .address_space:  global
        .offset:         48
        .size:           8
        .value_kind:     global_buffer
      - .actual_access:  read_only
        .address_space:  global
        .offset:         56
        .size:           8
        .value_kind:     global_buffer
      - .actual_access:  read_only
        .address_space:  global
        .offset:         64
        .size:           8
        .value_kind:     global_buffer
      - .actual_access:  read_only
        .address_space:  global
        .offset:         72
        .size:           8
        .value_kind:     global_buffer
      - .actual_access:  write_only
        .address_space:  global
        .offset:         80
        .size:           8
        .value_kind:     global_buffer
      - .offset:         88
        .size:           4
        .value_kind:     by_value
      - .actual_access:  read_only
        .address_space:  global
        .offset:         96
        .size:           8
        .value_kind:     global_buffer
      - .actual_access:  read_only
        .address_space:  global
        .offset:         104
        .size:           8
        .value_kind:     global_buffer
      - .actual_access:  read_only
        .address_space:  global
        .offset:         112
        .size:           8
        .value_kind:     global_buffer
      - .actual_access:  read_only
        .address_space:  global
        .offset:         120
        .size:           8
        .value_kind:     global_buffer
      - .actual_access:  write_only
        .address_space:  global
        .offset:         128
        .size:           8
        .value_kind:     global_buffer
      - .offset:         136
        .size:           4
        .value_kind:     by_value
      - .actual_access:  read_only
        .address_space:  global
        .offset:         144
        .size:           8
        .value_kind:     global_buffer
      - .actual_access:  write_only
        .address_space:  global
        .offset:         152
        .size:           8
        .value_kind:     global_buffer
    .group_segment_fixed_size: 0
    .kernarg_segment_align: 8
    .kernarg_segment_size: 160
    .language:       OpenCL C
    .language_version:
      - 2
      - 0
    .max_flat_workgroup_size: 1024
    .name:           _ZN9rocsparseL17kernel_correctionILi1024ELi8E21rocsparse_complex_numIfEiiEEvT3_T2_PKS4_S6_PKS3_PKT1_21rocsparse_index_base_S6_S6_S8_SB_PS9_SC_S6_S6_S8_SB_SD_SC_SB_SD_
    .private_segment_fixed_size: 0
    .sgpr_count:     55
    .sgpr_spill_count: 0
    .symbol:         _ZN9rocsparseL17kernel_correctionILi1024ELi8E21rocsparse_complex_numIfEiiEEvT3_T2_PKS4_S6_PKS3_PKT1_21rocsparse_index_base_S6_S6_S8_SB_PS9_SC_S6_S6_S8_SB_SD_SC_SB_SD_.kd
    .uniform_work_group_size: 1
    .uses_dynamic_stack: false
    .vgpr_count:     31
    .vgpr_spill_count: 0
    .wavefront_size: 32
    .workgroup_processor_mode: 1
  - .args:
      - .offset:         0
        .size:           4
        .value_kind:     by_value
      - .offset:         4
        .size:           4
        .value_kind:     by_value
      - .actual_access:  read_only
        .address_space:  global
        .offset:         8
        .size:           8
        .value_kind:     global_buffer
      - .actual_access:  read_only
        .address_space:  global
        .offset:         16
        .size:           8
        .value_kind:     global_buffer
      - .actual_access:  read_only
        .address_space:  global
        .offset:         24
        .size:           8
        .value_kind:     global_buffer
      - .actual_access:  read_only
        .address_space:  global
        .offset:         32
        .size:           8
        .value_kind:     global_buffer
      - .offset:         40
        .size:           4
        .value_kind:     by_value
      - .actual_access:  read_only
        .address_space:  global
        .offset:         48
        .size:           8
        .value_kind:     global_buffer
      - .actual_access:  read_only
        .address_space:  global
        .offset:         56
        .size:           8
        .value_kind:     global_buffer
      - .actual_access:  read_only
        .address_space:  global
        .offset:         64
        .size:           8
        .value_kind:     global_buffer
      - .actual_access:  read_only
        .address_space:  global
        .offset:         72
        .size:           8
        .value_kind:     global_buffer
      - .actual_access:  write_only
        .address_space:  global
        .offset:         80
        .size:           8
        .value_kind:     global_buffer
      - .offset:         88
        .size:           4
        .value_kind:     by_value
      - .actual_access:  read_only
        .address_space:  global
        .offset:         96
        .size:           8
        .value_kind:     global_buffer
      - .actual_access:  read_only
        .address_space:  global
        .offset:         104
        .size:           8
        .value_kind:     global_buffer
      - .actual_access:  read_only
        .address_space:  global
        .offset:         112
        .size:           8
        .value_kind:     global_buffer
      - .actual_access:  read_only
        .address_space:  global
        .offset:         120
        .size:           8
        .value_kind:     global_buffer
      - .actual_access:  write_only
        .address_space:  global
        .offset:         128
        .size:           8
        .value_kind:     global_buffer
      - .offset:         136
        .size:           4
        .value_kind:     by_value
      - .actual_access:  read_only
        .address_space:  global
        .offset:         144
        .size:           8
        .value_kind:     global_buffer
      - .actual_access:  write_only
        .address_space:  global
        .offset:         152
        .size:           8
        .value_kind:     global_buffer
    .group_segment_fixed_size: 0
    .kernarg_segment_align: 8
    .kernarg_segment_size: 160
    .language:       OpenCL C
    .language_version:
      - 2
      - 0
    .max_flat_workgroup_size: 1024
    .name:           _ZN9rocsparseL17kernel_correctionILi1024ELi16E21rocsparse_complex_numIfEiiEEvT3_T2_PKS4_S6_PKS3_PKT1_21rocsparse_index_base_S6_S6_S8_SB_PS9_SC_S6_S6_S8_SB_SD_SC_SB_SD_
    .private_segment_fixed_size: 0
    .sgpr_count:     55
    .sgpr_spill_count: 0
    .symbol:         _ZN9rocsparseL17kernel_correctionILi1024ELi16E21rocsparse_complex_numIfEiiEEvT3_T2_PKS4_S6_PKS3_PKT1_21rocsparse_index_base_S6_S6_S8_SB_PS9_SC_S6_S6_S8_SB_SD_SC_SB_SD_.kd
    .uniform_work_group_size: 1
    .uses_dynamic_stack: false
    .vgpr_count:     31
    .vgpr_spill_count: 0
    .wavefront_size: 32
    .workgroup_processor_mode: 1
  - .args:
      - .offset:         0
        .size:           4
        .value_kind:     by_value
      - .offset:         4
        .size:           4
        .value_kind:     by_value
      - .actual_access:  read_only
        .address_space:  global
        .offset:         8
        .size:           8
        .value_kind:     global_buffer
      - .actual_access:  read_only
        .address_space:  global
        .offset:         16
        .size:           8
        .value_kind:     global_buffer
      - .actual_access:  read_only
        .address_space:  global
        .offset:         24
        .size:           8
        .value_kind:     global_buffer
      - .actual_access:  read_only
        .address_space:  global
        .offset:         32
        .size:           8
        .value_kind:     global_buffer
      - .offset:         40
        .size:           4
        .value_kind:     by_value
      - .actual_access:  read_only
        .address_space:  global
        .offset:         48
        .size:           8
        .value_kind:     global_buffer
      - .actual_access:  read_only
        .address_space:  global
        .offset:         56
        .size:           8
        .value_kind:     global_buffer
      - .actual_access:  read_only
        .address_space:  global
        .offset:         64
        .size:           8
        .value_kind:     global_buffer
      - .actual_access:  read_only
        .address_space:  global
        .offset:         72
        .size:           8
        .value_kind:     global_buffer
      - .actual_access:  write_only
        .address_space:  global
        .offset:         80
        .size:           8
        .value_kind:     global_buffer
      - .offset:         88
        .size:           4
        .value_kind:     by_value
      - .actual_access:  read_only
        .address_space:  global
        .offset:         96
        .size:           8
        .value_kind:     global_buffer
      - .actual_access:  read_only
        .address_space:  global
        .offset:         104
        .size:           8
        .value_kind:     global_buffer
      - .actual_access:  read_only
        .address_space:  global
        .offset:         112
        .size:           8
        .value_kind:     global_buffer
      - .actual_access:  read_only
        .address_space:  global
        .offset:         120
        .size:           8
        .value_kind:     global_buffer
      - .actual_access:  write_only
        .address_space:  global
        .offset:         128
        .size:           8
        .value_kind:     global_buffer
      - .offset:         136
        .size:           4
        .value_kind:     by_value
      - .actual_access:  read_only
        .address_space:  global
        .offset:         144
        .size:           8
        .value_kind:     global_buffer
      - .actual_access:  write_only
        .address_space:  global
        .offset:         152
        .size:           8
        .value_kind:     global_buffer
    .group_segment_fixed_size: 0
    .kernarg_segment_align: 8
    .kernarg_segment_size: 160
    .language:       OpenCL C
    .language_version:
      - 2
      - 0
    .max_flat_workgroup_size: 1024
    .name:           _ZN9rocsparseL17kernel_correctionILi1024ELi32E21rocsparse_complex_numIfEiiEEvT3_T2_PKS4_S6_PKS3_PKT1_21rocsparse_index_base_S6_S6_S8_SB_PS9_SC_S6_S6_S8_SB_SD_SC_SB_SD_
    .private_segment_fixed_size: 0
    .sgpr_count:     55
    .sgpr_spill_count: 0
    .symbol:         _ZN9rocsparseL17kernel_correctionILi1024ELi32E21rocsparse_complex_numIfEiiEEvT3_T2_PKS4_S6_PKS3_PKT1_21rocsparse_index_base_S6_S6_S8_SB_PS9_SC_S6_S6_S8_SB_SD_SC_SB_SD_.kd
    .uniform_work_group_size: 1
    .uses_dynamic_stack: false
    .vgpr_count:     31
    .vgpr_spill_count: 0
    .wavefront_size: 32
    .workgroup_processor_mode: 1
  - .args:
      - .offset:         0
        .size:           4
        .value_kind:     by_value
      - .offset:         4
        .size:           4
        .value_kind:     by_value
      - .actual_access:  read_only
        .address_space:  global
        .offset:         8
        .size:           8
        .value_kind:     global_buffer
      - .actual_access:  read_only
        .address_space:  global
        .offset:         16
        .size:           8
        .value_kind:     global_buffer
      - .actual_access:  read_only
        .address_space:  global
        .offset:         24
        .size:           8
        .value_kind:     global_buffer
      - .actual_access:  read_only
        .address_space:  global
        .offset:         32
        .size:           8
        .value_kind:     global_buffer
      - .offset:         40
        .size:           4
        .value_kind:     by_value
      - .actual_access:  read_only
        .address_space:  global
        .offset:         48
        .size:           8
        .value_kind:     global_buffer
      - .actual_access:  read_only
        .address_space:  global
        .offset:         56
        .size:           8
        .value_kind:     global_buffer
      - .actual_access:  read_only
        .address_space:  global
        .offset:         64
        .size:           8
        .value_kind:     global_buffer
      - .actual_access:  read_only
        .address_space:  global
        .offset:         72
        .size:           8
        .value_kind:     global_buffer
      - .actual_access:  write_only
        .address_space:  global
        .offset:         80
        .size:           8
        .value_kind:     global_buffer
      - .offset:         88
        .size:           4
        .value_kind:     by_value
      - .actual_access:  read_only
        .address_space:  global
        .offset:         96
        .size:           8
        .value_kind:     global_buffer
      - .actual_access:  read_only
        .address_space:  global
        .offset:         104
        .size:           8
        .value_kind:     global_buffer
      - .actual_access:  read_only
        .address_space:  global
        .offset:         112
        .size:           8
        .value_kind:     global_buffer
      - .actual_access:  read_only
        .address_space:  global
        .offset:         120
        .size:           8
        .value_kind:     global_buffer
      - .actual_access:  write_only
        .address_space:  global
        .offset:         128
        .size:           8
        .value_kind:     global_buffer
      - .offset:         136
        .size:           4
        .value_kind:     by_value
      - .actual_access:  read_only
        .address_space:  global
        .offset:         144
        .size:           8
        .value_kind:     global_buffer
      - .actual_access:  write_only
        .address_space:  global
        .offset:         152
        .size:           8
        .value_kind:     global_buffer
    .group_segment_fixed_size: 0
    .kernarg_segment_align: 8
    .kernarg_segment_size: 160
    .language:       OpenCL C
    .language_version:
      - 2
      - 0
    .max_flat_workgroup_size: 1024
    .name:           _ZN9rocsparseL17kernel_correctionILi1024ELi64E21rocsparse_complex_numIfEiiEEvT3_T2_PKS4_S6_PKS3_PKT1_21rocsparse_index_base_S6_S6_S8_SB_PS9_SC_S6_S6_S8_SB_SD_SC_SB_SD_
    .private_segment_fixed_size: 0
    .sgpr_count:     55
    .sgpr_spill_count: 0
    .symbol:         _ZN9rocsparseL17kernel_correctionILi1024ELi64E21rocsparse_complex_numIfEiiEEvT3_T2_PKS4_S6_PKS3_PKT1_21rocsparse_index_base_S6_S6_S8_SB_PS9_SC_S6_S6_S8_SB_SD_SC_SB_SD_.kd
    .uniform_work_group_size: 1
    .uses_dynamic_stack: false
    .vgpr_count:     31
    .vgpr_spill_count: 0
    .wavefront_size: 32
    .workgroup_processor_mode: 1
  - .args:
      - .offset:         0
        .size:           4
        .value_kind:     by_value
      - .offset:         4
        .size:           4
        .value_kind:     by_value
      - .actual_access:  read_only
        .address_space:  global
        .offset:         8
        .size:           8
        .value_kind:     global_buffer
      - .actual_access:  read_only
        .address_space:  global
        .offset:         16
        .size:           8
        .value_kind:     global_buffer
      - .actual_access:  read_only
        .address_space:  global
        .offset:         24
        .size:           8
        .value_kind:     global_buffer
      - .actual_access:  read_only
        .address_space:  global
        .offset:         32
        .size:           8
        .value_kind:     global_buffer
      - .offset:         40
        .size:           4
        .value_kind:     by_value
      - .actual_access:  read_only
        .address_space:  global
        .offset:         48
        .size:           8
        .value_kind:     global_buffer
      - .actual_access:  read_only
        .address_space:  global
        .offset:         56
        .size:           8
        .value_kind:     global_buffer
      - .actual_access:  read_only
        .address_space:  global
        .offset:         64
        .size:           8
        .value_kind:     global_buffer
      - .actual_access:  read_only
        .address_space:  global
        .offset:         72
        .size:           8
        .value_kind:     global_buffer
      - .offset:         80
        .size:           4
        .value_kind:     by_value
      - .actual_access:  read_only
        .address_space:  global
        .offset:         88
        .size:           8
        .value_kind:     global_buffer
      - .actual_access:  read_only
        .address_space:  global
        .offset:         96
        .size:           8
        .value_kind:     global_buffer
      - .actual_access:  read_only
        .address_space:  global
        .offset:         104
        .size:           8
        .value_kind:     global_buffer
      - .actual_access:  read_only
        .address_space:  global
        .offset:         112
        .size:           8
        .value_kind:     global_buffer
      - .offset:         120
        .size:           4
        .value_kind:     by_value
      - .actual_access:  read_only
        .address_space:  global
        .offset:         128
        .size:           8
        .value_kind:     global_buffer
      - .address_space:  global
        .offset:         136
        .size:           8
        .value_kind:     global_buffer
      - .actual_access:  read_only
        .address_space:  global
        .offset:         144
        .size:           8
        .value_kind:     global_buffer
    .group_segment_fixed_size: 4096
    .kernarg_segment_align: 8
    .kernarg_segment_size: 152
    .language:       OpenCL C
    .language_version:
      - 2
      - 0
    .max_flat_workgroup_size: 1024
    .name:           _ZN9rocsparseL19kernel_nrm_residualILi1024ELi1E21rocsparse_complex_numIfEiiEEvT3_T2_PKS4_S6_PKS3_PKT1_21rocsparse_index_base_S6_S6_S8_SB_SC_S6_S6_S8_SB_SC_SB_PNS_15floating_traitsIS9_E6data_tEPKSF_
    .private_segment_fixed_size: 0
    .sgpr_count:     51
    .sgpr_spill_count: 0
    .symbol:         _ZN9rocsparseL19kernel_nrm_residualILi1024ELi1E21rocsparse_complex_numIfEiiEEvT3_T2_PKS4_S6_PKS3_PKT1_21rocsparse_index_base_S6_S6_S8_SB_SC_S6_S6_S8_SB_SC_SB_PNS_15floating_traitsIS9_E6data_tEPKSF_.kd
    .uniform_work_group_size: 1
    .uses_dynamic_stack: false
    .vgpr_count:     32
    .vgpr_spill_count: 0
    .wavefront_size: 32
    .workgroup_processor_mode: 1
  - .args:
      - .offset:         0
        .size:           4
        .value_kind:     by_value
      - .offset:         4
        .size:           4
        .value_kind:     by_value
      - .actual_access:  read_only
        .address_space:  global
        .offset:         8
        .size:           8
        .value_kind:     global_buffer
      - .actual_access:  read_only
        .address_space:  global
        .offset:         16
        .size:           8
        .value_kind:     global_buffer
      - .actual_access:  read_only
        .address_space:  global
        .offset:         24
        .size:           8
        .value_kind:     global_buffer
      - .actual_access:  read_only
        .address_space:  global
        .offset:         32
        .size:           8
        .value_kind:     global_buffer
      - .offset:         40
        .size:           4
        .value_kind:     by_value
      - .actual_access:  read_only
        .address_space:  global
        .offset:         48
        .size:           8
        .value_kind:     global_buffer
      - .actual_access:  read_only
        .address_space:  global
        .offset:         56
        .size:           8
        .value_kind:     global_buffer
      - .actual_access:  read_only
        .address_space:  global
        .offset:         64
        .size:           8
        .value_kind:     global_buffer
      - .actual_access:  read_only
        .address_space:  global
        .offset:         72
        .size:           8
        .value_kind:     global_buffer
      - .offset:         80
        .size:           4
        .value_kind:     by_value
      - .actual_access:  read_only
        .address_space:  global
        .offset:         88
        .size:           8
        .value_kind:     global_buffer
      - .actual_access:  read_only
        .address_space:  global
        .offset:         96
        .size:           8
        .value_kind:     global_buffer
      - .actual_access:  read_only
        .address_space:  global
        .offset:         104
        .size:           8
        .value_kind:     global_buffer
      - .actual_access:  read_only
        .address_space:  global
        .offset:         112
        .size:           8
        .value_kind:     global_buffer
      - .offset:         120
        .size:           4
        .value_kind:     by_value
      - .actual_access:  read_only
        .address_space:  global
        .offset:         128
        .size:           8
        .value_kind:     global_buffer
      - .address_space:  global
        .offset:         136
        .size:           8
        .value_kind:     global_buffer
      - .actual_access:  read_only
        .address_space:  global
        .offset:         144
        .size:           8
        .value_kind:     global_buffer
    .group_segment_fixed_size: 2048
    .kernarg_segment_align: 8
    .kernarg_segment_size: 152
    .language:       OpenCL C
    .language_version:
      - 2
      - 0
    .max_flat_workgroup_size: 1024
    .name:           _ZN9rocsparseL19kernel_nrm_residualILi1024ELi2E21rocsparse_complex_numIfEiiEEvT3_T2_PKS4_S6_PKS3_PKT1_21rocsparse_index_base_S6_S6_S8_SB_SC_S6_S6_S8_SB_SC_SB_PNS_15floating_traitsIS9_E6data_tEPKSF_
    .private_segment_fixed_size: 0
    .sgpr_count:     51
    .sgpr_spill_count: 0
    .symbol:         _ZN9rocsparseL19kernel_nrm_residualILi1024ELi2E21rocsparse_complex_numIfEiiEEvT3_T2_PKS4_S6_PKS3_PKT1_21rocsparse_index_base_S6_S6_S8_SB_SC_S6_S6_S8_SB_SC_SB_PNS_15floating_traitsIS9_E6data_tEPKSF_.kd
    .uniform_work_group_size: 1
    .uses_dynamic_stack: false
    .vgpr_count:     35
    .vgpr_spill_count: 0
    .wavefront_size: 32
    .workgroup_processor_mode: 1
  - .args:
      - .offset:         0
        .size:           4
        .value_kind:     by_value
      - .offset:         4
        .size:           4
        .value_kind:     by_value
      - .actual_access:  read_only
        .address_space:  global
        .offset:         8
        .size:           8
        .value_kind:     global_buffer
      - .actual_access:  read_only
        .address_space:  global
        .offset:         16
        .size:           8
        .value_kind:     global_buffer
      - .actual_access:  read_only
        .address_space:  global
        .offset:         24
        .size:           8
        .value_kind:     global_buffer
      - .actual_access:  read_only
        .address_space:  global
        .offset:         32
        .size:           8
        .value_kind:     global_buffer
      - .offset:         40
        .size:           4
        .value_kind:     by_value
      - .actual_access:  read_only
        .address_space:  global
        .offset:         48
        .size:           8
        .value_kind:     global_buffer
      - .actual_access:  read_only
        .address_space:  global
        .offset:         56
        .size:           8
        .value_kind:     global_buffer
      - .actual_access:  read_only
        .address_space:  global
        .offset:         64
        .size:           8
        .value_kind:     global_buffer
      - .actual_access:  read_only
        .address_space:  global
        .offset:         72
        .size:           8
        .value_kind:     global_buffer
      - .offset:         80
        .size:           4
        .value_kind:     by_value
      - .actual_access:  read_only
        .address_space:  global
        .offset:         88
        .size:           8
        .value_kind:     global_buffer
      - .actual_access:  read_only
        .address_space:  global
        .offset:         96
        .size:           8
        .value_kind:     global_buffer
      - .actual_access:  read_only
        .address_space:  global
        .offset:         104
        .size:           8
        .value_kind:     global_buffer
      - .actual_access:  read_only
        .address_space:  global
        .offset:         112
        .size:           8
        .value_kind:     global_buffer
      - .offset:         120
        .size:           4
        .value_kind:     by_value
      - .actual_access:  read_only
        .address_space:  global
        .offset:         128
        .size:           8
        .value_kind:     global_buffer
      - .address_space:  global
        .offset:         136
        .size:           8
        .value_kind:     global_buffer
      - .actual_access:  read_only
        .address_space:  global
        .offset:         144
        .size:           8
        .value_kind:     global_buffer
    .group_segment_fixed_size: 1024
    .kernarg_segment_align: 8
    .kernarg_segment_size: 152
    .language:       OpenCL C
    .language_version:
      - 2
      - 0
    .max_flat_workgroup_size: 1024
    .name:           _ZN9rocsparseL19kernel_nrm_residualILi1024ELi4E21rocsparse_complex_numIfEiiEEvT3_T2_PKS4_S6_PKS3_PKT1_21rocsparse_index_base_S6_S6_S8_SB_SC_S6_S6_S8_SB_SC_SB_PNS_15floating_traitsIS9_E6data_tEPKSF_
    .private_segment_fixed_size: 0
    .sgpr_count:     51
    .sgpr_spill_count: 0
    .symbol:         _ZN9rocsparseL19kernel_nrm_residualILi1024ELi4E21rocsparse_complex_numIfEiiEEvT3_T2_PKS4_S6_PKS3_PKT1_21rocsparse_index_base_S6_S6_S8_SB_SC_S6_S6_S8_SB_SC_SB_PNS_15floating_traitsIS9_E6data_tEPKSF_.kd
    .uniform_work_group_size: 1
    .uses_dynamic_stack: false
    .vgpr_count:     35
    .vgpr_spill_count: 0
    .wavefront_size: 32
    .workgroup_processor_mode: 1
  - .args:
      - .offset:         0
        .size:           4
        .value_kind:     by_value
      - .offset:         4
        .size:           4
        .value_kind:     by_value
      - .actual_access:  read_only
        .address_space:  global
        .offset:         8
        .size:           8
        .value_kind:     global_buffer
      - .actual_access:  read_only
        .address_space:  global
        .offset:         16
        .size:           8
        .value_kind:     global_buffer
      - .actual_access:  read_only
        .address_space:  global
        .offset:         24
        .size:           8
        .value_kind:     global_buffer
      - .actual_access:  read_only
        .address_space:  global
        .offset:         32
        .size:           8
        .value_kind:     global_buffer
      - .offset:         40
        .size:           4
        .value_kind:     by_value
      - .actual_access:  read_only
        .address_space:  global
        .offset:         48
        .size:           8
        .value_kind:     global_buffer
      - .actual_access:  read_only
        .address_space:  global
        .offset:         56
        .size:           8
        .value_kind:     global_buffer
      - .actual_access:  read_only
        .address_space:  global
        .offset:         64
        .size:           8
        .value_kind:     global_buffer
      - .actual_access:  read_only
        .address_space:  global
        .offset:         72
        .size:           8
        .value_kind:     global_buffer
      - .offset:         80
        .size:           4
        .value_kind:     by_value
      - .actual_access:  read_only
        .address_space:  global
        .offset:         88
        .size:           8
        .value_kind:     global_buffer
      - .actual_access:  read_only
        .address_space:  global
        .offset:         96
        .size:           8
        .value_kind:     global_buffer
      - .actual_access:  read_only
        .address_space:  global
        .offset:         104
        .size:           8
        .value_kind:     global_buffer
      - .actual_access:  read_only
        .address_space:  global
        .offset:         112
        .size:           8
        .value_kind:     global_buffer
      - .offset:         120
        .size:           4
        .value_kind:     by_value
      - .actual_access:  read_only
        .address_space:  global
        .offset:         128
        .size:           8
        .value_kind:     global_buffer
      - .address_space:  global
        .offset:         136
        .size:           8
        .value_kind:     global_buffer
      - .actual_access:  read_only
        .address_space:  global
        .offset:         144
        .size:           8
        .value_kind:     global_buffer
    .group_segment_fixed_size: 512
    .kernarg_segment_align: 8
    .kernarg_segment_size: 152
    .language:       OpenCL C
    .language_version:
      - 2
      - 0
    .max_flat_workgroup_size: 1024
    .name:           _ZN9rocsparseL19kernel_nrm_residualILi1024ELi8E21rocsparse_complex_numIfEiiEEvT3_T2_PKS4_S6_PKS3_PKT1_21rocsparse_index_base_S6_S6_S8_SB_SC_S6_S6_S8_SB_SC_SB_PNS_15floating_traitsIS9_E6data_tEPKSF_
    .private_segment_fixed_size: 0
    .sgpr_count:     51
    .sgpr_spill_count: 0
    .symbol:         _ZN9rocsparseL19kernel_nrm_residualILi1024ELi8E21rocsparse_complex_numIfEiiEEvT3_T2_PKS4_S6_PKS3_PKT1_21rocsparse_index_base_S6_S6_S8_SB_SC_S6_S6_S8_SB_SC_SB_PNS_15floating_traitsIS9_E6data_tEPKSF_.kd
    .uniform_work_group_size: 1
    .uses_dynamic_stack: false
    .vgpr_count:     35
    .vgpr_spill_count: 0
    .wavefront_size: 32
    .workgroup_processor_mode: 1
  - .args:
      - .offset:         0
        .size:           4
        .value_kind:     by_value
      - .offset:         4
        .size:           4
        .value_kind:     by_value
      - .actual_access:  read_only
        .address_space:  global
        .offset:         8
        .size:           8
        .value_kind:     global_buffer
      - .actual_access:  read_only
        .address_space:  global
        .offset:         16
        .size:           8
        .value_kind:     global_buffer
      - .actual_access:  read_only
        .address_space:  global
        .offset:         24
        .size:           8
        .value_kind:     global_buffer
      - .actual_access:  read_only
        .address_space:  global
        .offset:         32
        .size:           8
        .value_kind:     global_buffer
      - .offset:         40
        .size:           4
        .value_kind:     by_value
      - .actual_access:  read_only
        .address_space:  global
        .offset:         48
        .size:           8
        .value_kind:     global_buffer
      - .actual_access:  read_only
        .address_space:  global
        .offset:         56
        .size:           8
        .value_kind:     global_buffer
      - .actual_access:  read_only
        .address_space:  global
        .offset:         64
        .size:           8
        .value_kind:     global_buffer
      - .actual_access:  read_only
        .address_space:  global
        .offset:         72
        .size:           8
        .value_kind:     global_buffer
      - .offset:         80
        .size:           4
        .value_kind:     by_value
      - .actual_access:  read_only
        .address_space:  global
        .offset:         88
        .size:           8
        .value_kind:     global_buffer
      - .actual_access:  read_only
        .address_space:  global
        .offset:         96
        .size:           8
        .value_kind:     global_buffer
      - .actual_access:  read_only
        .address_space:  global
        .offset:         104
        .size:           8
        .value_kind:     global_buffer
      - .actual_access:  read_only
        .address_space:  global
        .offset:         112
        .size:           8
        .value_kind:     global_buffer
      - .offset:         120
        .size:           4
        .value_kind:     by_value
      - .actual_access:  read_only
        .address_space:  global
        .offset:         128
        .size:           8
        .value_kind:     global_buffer
      - .address_space:  global
        .offset:         136
        .size:           8
        .value_kind:     global_buffer
      - .actual_access:  read_only
        .address_space:  global
        .offset:         144
        .size:           8
        .value_kind:     global_buffer
    .group_segment_fixed_size: 256
    .kernarg_segment_align: 8
    .kernarg_segment_size: 152
    .language:       OpenCL C
    .language_version:
      - 2
      - 0
    .max_flat_workgroup_size: 1024
    .name:           _ZN9rocsparseL19kernel_nrm_residualILi1024ELi16E21rocsparse_complex_numIfEiiEEvT3_T2_PKS4_S6_PKS3_PKT1_21rocsparse_index_base_S6_S6_S8_SB_SC_S6_S6_S8_SB_SC_SB_PNS_15floating_traitsIS9_E6data_tEPKSF_
    .private_segment_fixed_size: 0
    .sgpr_count:     51
    .sgpr_spill_count: 0
    .symbol:         _ZN9rocsparseL19kernel_nrm_residualILi1024ELi16E21rocsparse_complex_numIfEiiEEvT3_T2_PKS4_S6_PKS3_PKT1_21rocsparse_index_base_S6_S6_S8_SB_SC_S6_S6_S8_SB_SC_SB_PNS_15floating_traitsIS9_E6data_tEPKSF_.kd
    .uniform_work_group_size: 1
    .uses_dynamic_stack: false
    .vgpr_count:     35
    .vgpr_spill_count: 0
    .wavefront_size: 32
    .workgroup_processor_mode: 1
  - .args:
      - .offset:         0
        .size:           4
        .value_kind:     by_value
      - .offset:         4
        .size:           4
        .value_kind:     by_value
      - .actual_access:  read_only
        .address_space:  global
        .offset:         8
        .size:           8
        .value_kind:     global_buffer
      - .actual_access:  read_only
        .address_space:  global
        .offset:         16
        .size:           8
        .value_kind:     global_buffer
      - .actual_access:  read_only
        .address_space:  global
        .offset:         24
        .size:           8
        .value_kind:     global_buffer
      - .actual_access:  read_only
        .address_space:  global
        .offset:         32
        .size:           8
        .value_kind:     global_buffer
      - .offset:         40
        .size:           4
        .value_kind:     by_value
      - .actual_access:  read_only
        .address_space:  global
        .offset:         48
        .size:           8
        .value_kind:     global_buffer
      - .actual_access:  read_only
        .address_space:  global
        .offset:         56
        .size:           8
        .value_kind:     global_buffer
      - .actual_access:  read_only
        .address_space:  global
        .offset:         64
        .size:           8
        .value_kind:     global_buffer
      - .actual_access:  read_only
        .address_space:  global
        .offset:         72
        .size:           8
        .value_kind:     global_buffer
      - .offset:         80
        .size:           4
        .value_kind:     by_value
      - .actual_access:  read_only
        .address_space:  global
        .offset:         88
        .size:           8
        .value_kind:     global_buffer
      - .actual_access:  read_only
        .address_space:  global
        .offset:         96
        .size:           8
        .value_kind:     global_buffer
      - .actual_access:  read_only
        .address_space:  global
        .offset:         104
        .size:           8
        .value_kind:     global_buffer
      - .actual_access:  read_only
        .address_space:  global
        .offset:         112
        .size:           8
        .value_kind:     global_buffer
      - .offset:         120
        .size:           4
        .value_kind:     by_value
      - .actual_access:  read_only
        .address_space:  global
        .offset:         128
        .size:           8
        .value_kind:     global_buffer
      - .address_space:  global
        .offset:         136
        .size:           8
        .value_kind:     global_buffer
      - .actual_access:  read_only
        .address_space:  global
        .offset:         144
        .size:           8
        .value_kind:     global_buffer
    .group_segment_fixed_size: 128
    .kernarg_segment_align: 8
    .kernarg_segment_size: 152
    .language:       OpenCL C
    .language_version:
      - 2
      - 0
    .max_flat_workgroup_size: 1024
    .name:           _ZN9rocsparseL19kernel_nrm_residualILi1024ELi32E21rocsparse_complex_numIfEiiEEvT3_T2_PKS4_S6_PKS3_PKT1_21rocsparse_index_base_S6_S6_S8_SB_SC_S6_S6_S8_SB_SC_SB_PNS_15floating_traitsIS9_E6data_tEPKSF_
    .private_segment_fixed_size: 0
    .sgpr_count:     51
    .sgpr_spill_count: 0
    .symbol:         _ZN9rocsparseL19kernel_nrm_residualILi1024ELi32E21rocsparse_complex_numIfEiiEEvT3_T2_PKS4_S6_PKS3_PKT1_21rocsparse_index_base_S6_S6_S8_SB_SC_S6_S6_S8_SB_SC_SB_PNS_15floating_traitsIS9_E6data_tEPKSF_.kd
    .uniform_work_group_size: 1
    .uses_dynamic_stack: false
    .vgpr_count:     35
    .vgpr_spill_count: 0
    .wavefront_size: 32
    .workgroup_processor_mode: 1
  - .args:
      - .offset:         0
        .size:           4
        .value_kind:     by_value
      - .offset:         4
        .size:           4
        .value_kind:     by_value
      - .actual_access:  read_only
        .address_space:  global
        .offset:         8
        .size:           8
        .value_kind:     global_buffer
      - .actual_access:  read_only
        .address_space:  global
        .offset:         16
        .size:           8
        .value_kind:     global_buffer
      - .actual_access:  read_only
        .address_space:  global
        .offset:         24
        .size:           8
        .value_kind:     global_buffer
      - .actual_access:  read_only
        .address_space:  global
        .offset:         32
        .size:           8
        .value_kind:     global_buffer
      - .offset:         40
        .size:           4
        .value_kind:     by_value
      - .actual_access:  read_only
        .address_space:  global
        .offset:         48
        .size:           8
        .value_kind:     global_buffer
      - .actual_access:  read_only
        .address_space:  global
        .offset:         56
        .size:           8
        .value_kind:     global_buffer
      - .actual_access:  read_only
        .address_space:  global
        .offset:         64
        .size:           8
        .value_kind:     global_buffer
      - .actual_access:  read_only
        .address_space:  global
        .offset:         72
        .size:           8
        .value_kind:     global_buffer
      - .offset:         80
        .size:           4
        .value_kind:     by_value
      - .actual_access:  read_only
        .address_space:  global
        .offset:         88
        .size:           8
        .value_kind:     global_buffer
      - .actual_access:  read_only
        .address_space:  global
        .offset:         96
        .size:           8
        .value_kind:     global_buffer
      - .actual_access:  read_only
        .address_space:  global
        .offset:         104
        .size:           8
        .value_kind:     global_buffer
      - .actual_access:  read_only
        .address_space:  global
        .offset:         112
        .size:           8
        .value_kind:     global_buffer
      - .offset:         120
        .size:           4
        .value_kind:     by_value
      - .actual_access:  read_only
        .address_space:  global
        .offset:         128
        .size:           8
        .value_kind:     global_buffer
      - .address_space:  global
        .offset:         136
        .size:           8
        .value_kind:     global_buffer
      - .actual_access:  read_only
        .address_space:  global
        .offset:         144
        .size:           8
        .value_kind:     global_buffer
    .group_segment_fixed_size: 64
    .kernarg_segment_align: 8
    .kernarg_segment_size: 152
    .language:       OpenCL C
    .language_version:
      - 2
      - 0
    .max_flat_workgroup_size: 1024
    .name:           _ZN9rocsparseL19kernel_nrm_residualILi1024ELi64E21rocsparse_complex_numIfEiiEEvT3_T2_PKS4_S6_PKS3_PKT1_21rocsparse_index_base_S6_S6_S8_SB_SC_S6_S6_S8_SB_SC_SB_PNS_15floating_traitsIS9_E6data_tEPKSF_
    .private_segment_fixed_size: 0
    .sgpr_count:     51
    .sgpr_spill_count: 0
    .symbol:         _ZN9rocsparseL19kernel_nrm_residualILi1024ELi64E21rocsparse_complex_numIfEiiEEvT3_T2_PKS4_S6_PKS3_PKT1_21rocsparse_index_base_S6_S6_S8_SB_SC_S6_S6_S8_SB_SC_SB_PNS_15floating_traitsIS9_E6data_tEPKSF_.kd
    .uniform_work_group_size: 1
    .uses_dynamic_stack: false
    .vgpr_count:     35
    .vgpr_spill_count: 0
    .wavefront_size: 32
    .workgroup_processor_mode: 1
  - .args:
      - .offset:         0
        .size:           4
        .value_kind:     by_value
      - .offset:         4
        .size:           4
        .value_kind:     by_value
      - .actual_access:  read_only
        .address_space:  global
        .offset:         8
        .size:           8
        .value_kind:     global_buffer
      - .actual_access:  read_only
        .address_space:  global
        .offset:         16
        .size:           8
        .value_kind:     global_buffer
      - .actual_access:  read_only
        .address_space:  global
        .offset:         24
        .size:           8
        .value_kind:     global_buffer
      - .actual_access:  read_only
        .address_space:  global
        .offset:         32
        .size:           8
        .value_kind:     global_buffer
      - .offset:         40
        .size:           4
        .value_kind:     by_value
      - .actual_access:  read_only
        .address_space:  global
        .offset:         48
        .size:           8
        .value_kind:     global_buffer
      - .actual_access:  read_only
        .address_space:  global
        .offset:         56
        .size:           8
        .value_kind:     global_buffer
      - .actual_access:  read_only
        .address_space:  global
        .offset:         64
        .size:           8
        .value_kind:     global_buffer
      - .actual_access:  read_only
        .address_space:  global
        .offset:         72
        .size:           8
        .value_kind:     global_buffer
      - .actual_access:  write_only
        .address_space:  global
        .offset:         80
        .size:           8
        .value_kind:     global_buffer
      - .offset:         88
        .size:           4
        .value_kind:     by_value
      - .actual_access:  read_only
        .address_space:  global
        .offset:         96
        .size:           8
        .value_kind:     global_buffer
      - .actual_access:  read_only
        .address_space:  global
        .offset:         104
        .size:           8
        .value_kind:     global_buffer
      - .actual_access:  read_only
        .address_space:  global
        .offset:         112
        .size:           8
        .value_kind:     global_buffer
      - .actual_access:  read_only
        .address_space:  global
        .offset:         120
        .size:           8
        .value_kind:     global_buffer
      - .actual_access:  write_only
        .address_space:  global
        .offset:         128
        .size:           8
        .value_kind:     global_buffer
      - .offset:         136
        .size:           4
        .value_kind:     by_value
      - .actual_access:  read_only
        .address_space:  global
        .offset:         144
        .size:           8
        .value_kind:     global_buffer
      - .actual_access:  write_only
        .address_space:  global
        .offset:         152
        .size:           8
        .value_kind:     global_buffer
    .group_segment_fixed_size: 0
    .kernarg_segment_align: 8
    .kernarg_segment_size: 160
    .language:       OpenCL C
    .language_version:
      - 2
      - 0
    .max_flat_workgroup_size: 1024
    .name:           _ZN9rocsparseL17kernel_correctionILi1024ELi1E21rocsparse_complex_numIdEiiEEvT3_T2_PKS4_S6_PKS3_PKT1_21rocsparse_index_base_S6_S6_S8_SB_PS9_SC_S6_S6_S8_SB_SD_SC_SB_SD_
    .private_segment_fixed_size: 0
    .sgpr_count:     55
    .sgpr_spill_count: 0
    .symbol:         _ZN9rocsparseL17kernel_correctionILi1024ELi1E21rocsparse_complex_numIdEiiEEvT3_T2_PKS4_S6_PKS3_PKT1_21rocsparse_index_base_S6_S6_S8_SB_PS9_SC_S6_S6_S8_SB_SD_SC_SB_SD_.kd
    .uniform_work_group_size: 1
    .uses_dynamic_stack: false
    .vgpr_count:     36
    .vgpr_spill_count: 0
    .wavefront_size: 32
    .workgroup_processor_mode: 1
  - .args:
      - .offset:         0
        .size:           4
        .value_kind:     by_value
      - .offset:         4
        .size:           4
        .value_kind:     by_value
      - .actual_access:  read_only
        .address_space:  global
        .offset:         8
        .size:           8
        .value_kind:     global_buffer
      - .actual_access:  read_only
        .address_space:  global
        .offset:         16
        .size:           8
        .value_kind:     global_buffer
      - .actual_access:  read_only
        .address_space:  global
        .offset:         24
        .size:           8
        .value_kind:     global_buffer
      - .actual_access:  read_only
        .address_space:  global
        .offset:         32
        .size:           8
        .value_kind:     global_buffer
      - .offset:         40
        .size:           4
        .value_kind:     by_value
      - .actual_access:  read_only
        .address_space:  global
        .offset:         48
        .size:           8
        .value_kind:     global_buffer
      - .actual_access:  read_only
        .address_space:  global
        .offset:         56
        .size:           8
        .value_kind:     global_buffer
      - .actual_access:  read_only
        .address_space:  global
        .offset:         64
        .size:           8
        .value_kind:     global_buffer
      - .actual_access:  read_only
        .address_space:  global
        .offset:         72
        .size:           8
        .value_kind:     global_buffer
      - .actual_access:  write_only
        .address_space:  global
        .offset:         80
        .size:           8
        .value_kind:     global_buffer
      - .offset:         88
        .size:           4
        .value_kind:     by_value
      - .actual_access:  read_only
        .address_space:  global
        .offset:         96
        .size:           8
        .value_kind:     global_buffer
      - .actual_access:  read_only
        .address_space:  global
        .offset:         104
        .size:           8
        .value_kind:     global_buffer
      - .actual_access:  read_only
        .address_space:  global
        .offset:         112
        .size:           8
        .value_kind:     global_buffer
      - .actual_access:  read_only
        .address_space:  global
        .offset:         120
        .size:           8
        .value_kind:     global_buffer
      - .actual_access:  write_only
        .address_space:  global
        .offset:         128
        .size:           8
        .value_kind:     global_buffer
      - .offset:         136
        .size:           4
        .value_kind:     by_value
      - .actual_access:  read_only
        .address_space:  global
        .offset:         144
        .size:           8
        .value_kind:     global_buffer
      - .actual_access:  write_only
        .address_space:  global
        .offset:         152
        .size:           8
        .value_kind:     global_buffer
    .group_segment_fixed_size: 0
    .kernarg_segment_align: 8
    .kernarg_segment_size: 160
    .language:       OpenCL C
    .language_version:
      - 2
      - 0
    .max_flat_workgroup_size: 1024
    .name:           _ZN9rocsparseL17kernel_correctionILi1024ELi2E21rocsparse_complex_numIdEiiEEvT3_T2_PKS4_S6_PKS3_PKT1_21rocsparse_index_base_S6_S6_S8_SB_PS9_SC_S6_S6_S8_SB_SD_SC_SB_SD_
    .private_segment_fixed_size: 0
    .sgpr_count:     55
    .sgpr_spill_count: 0
    .symbol:         _ZN9rocsparseL17kernel_correctionILi1024ELi2E21rocsparse_complex_numIdEiiEEvT3_T2_PKS4_S6_PKS3_PKT1_21rocsparse_index_base_S6_S6_S8_SB_PS9_SC_S6_S6_S8_SB_SD_SC_SB_SD_.kd
    .uniform_work_group_size: 1
    .uses_dynamic_stack: false
    .vgpr_count:     37
    .vgpr_spill_count: 0
    .wavefront_size: 32
    .workgroup_processor_mode: 1
  - .args:
      - .offset:         0
        .size:           4
        .value_kind:     by_value
      - .offset:         4
        .size:           4
        .value_kind:     by_value
      - .actual_access:  read_only
        .address_space:  global
        .offset:         8
        .size:           8
        .value_kind:     global_buffer
      - .actual_access:  read_only
        .address_space:  global
        .offset:         16
        .size:           8
        .value_kind:     global_buffer
      - .actual_access:  read_only
        .address_space:  global
        .offset:         24
        .size:           8
        .value_kind:     global_buffer
      - .actual_access:  read_only
        .address_space:  global
        .offset:         32
        .size:           8
        .value_kind:     global_buffer
      - .offset:         40
        .size:           4
        .value_kind:     by_value
      - .actual_access:  read_only
        .address_space:  global
        .offset:         48
        .size:           8
        .value_kind:     global_buffer
      - .actual_access:  read_only
        .address_space:  global
        .offset:         56
        .size:           8
        .value_kind:     global_buffer
      - .actual_access:  read_only
        .address_space:  global
        .offset:         64
        .size:           8
        .value_kind:     global_buffer
      - .actual_access:  read_only
        .address_space:  global
        .offset:         72
        .size:           8
        .value_kind:     global_buffer
      - .actual_access:  write_only
        .address_space:  global
        .offset:         80
        .size:           8
        .value_kind:     global_buffer
      - .offset:         88
        .size:           4
        .value_kind:     by_value
      - .actual_access:  read_only
        .address_space:  global
        .offset:         96
        .size:           8
        .value_kind:     global_buffer
      - .actual_access:  read_only
        .address_space:  global
        .offset:         104
        .size:           8
        .value_kind:     global_buffer
      - .actual_access:  read_only
        .address_space:  global
        .offset:         112
        .size:           8
        .value_kind:     global_buffer
      - .actual_access:  read_only
        .address_space:  global
        .offset:         120
        .size:           8
        .value_kind:     global_buffer
      - .actual_access:  write_only
        .address_space:  global
        .offset:         128
        .size:           8
        .value_kind:     global_buffer
      - .offset:         136
        .size:           4
        .value_kind:     by_value
      - .actual_access:  read_only
        .address_space:  global
        .offset:         144
        .size:           8
        .value_kind:     global_buffer
      - .actual_access:  write_only
        .address_space:  global
        .offset:         152
        .size:           8
        .value_kind:     global_buffer
    .group_segment_fixed_size: 0
    .kernarg_segment_align: 8
    .kernarg_segment_size: 160
    .language:       OpenCL C
    .language_version:
      - 2
      - 0
    .max_flat_workgroup_size: 1024
    .name:           _ZN9rocsparseL17kernel_correctionILi1024ELi4E21rocsparse_complex_numIdEiiEEvT3_T2_PKS4_S6_PKS3_PKT1_21rocsparse_index_base_S6_S6_S8_SB_PS9_SC_S6_S6_S8_SB_SD_SC_SB_SD_
    .private_segment_fixed_size: 0
    .sgpr_count:     55
    .sgpr_spill_count: 0
    .symbol:         _ZN9rocsparseL17kernel_correctionILi1024ELi4E21rocsparse_complex_numIdEiiEEvT3_T2_PKS4_S6_PKS3_PKT1_21rocsparse_index_base_S6_S6_S8_SB_PS9_SC_S6_S6_S8_SB_SD_SC_SB_SD_.kd
    .uniform_work_group_size: 1
    .uses_dynamic_stack: false
    .vgpr_count:     37
    .vgpr_spill_count: 0
    .wavefront_size: 32
    .workgroup_processor_mode: 1
  - .args:
      - .offset:         0
        .size:           4
        .value_kind:     by_value
      - .offset:         4
        .size:           4
        .value_kind:     by_value
      - .actual_access:  read_only
        .address_space:  global
        .offset:         8
        .size:           8
        .value_kind:     global_buffer
      - .actual_access:  read_only
        .address_space:  global
        .offset:         16
        .size:           8
        .value_kind:     global_buffer
      - .actual_access:  read_only
        .address_space:  global
        .offset:         24
        .size:           8
        .value_kind:     global_buffer
      - .actual_access:  read_only
        .address_space:  global
        .offset:         32
        .size:           8
        .value_kind:     global_buffer
      - .offset:         40
        .size:           4
        .value_kind:     by_value
      - .actual_access:  read_only
        .address_space:  global
        .offset:         48
        .size:           8
        .value_kind:     global_buffer
      - .actual_access:  read_only
        .address_space:  global
        .offset:         56
        .size:           8
        .value_kind:     global_buffer
      - .actual_access:  read_only
        .address_space:  global
        .offset:         64
        .size:           8
        .value_kind:     global_buffer
      - .actual_access:  read_only
        .address_space:  global
        .offset:         72
        .size:           8
        .value_kind:     global_buffer
      - .actual_access:  write_only
        .address_space:  global
        .offset:         80
        .size:           8
        .value_kind:     global_buffer
      - .offset:         88
        .size:           4
        .value_kind:     by_value
      - .actual_access:  read_only
        .address_space:  global
        .offset:         96
        .size:           8
        .value_kind:     global_buffer
      - .actual_access:  read_only
        .address_space:  global
        .offset:         104
        .size:           8
        .value_kind:     global_buffer
      - .actual_access:  read_only
        .address_space:  global
        .offset:         112
        .size:           8
        .value_kind:     global_buffer
      - .actual_access:  read_only
        .address_space:  global
        .offset:         120
        .size:           8
        .value_kind:     global_buffer
      - .actual_access:  write_only
        .address_space:  global
        .offset:         128
        .size:           8
        .value_kind:     global_buffer
      - .offset:         136
        .size:           4
        .value_kind:     by_value
      - .actual_access:  read_only
        .address_space:  global
        .offset:         144
        .size:           8
        .value_kind:     global_buffer
      - .actual_access:  write_only
        .address_space:  global
        .offset:         152
        .size:           8
        .value_kind:     global_buffer
    .group_segment_fixed_size: 0
    .kernarg_segment_align: 8
    .kernarg_segment_size: 160
    .language:       OpenCL C
    .language_version:
      - 2
      - 0
    .max_flat_workgroup_size: 1024
    .name:           _ZN9rocsparseL17kernel_correctionILi1024ELi8E21rocsparse_complex_numIdEiiEEvT3_T2_PKS4_S6_PKS3_PKT1_21rocsparse_index_base_S6_S6_S8_SB_PS9_SC_S6_S6_S8_SB_SD_SC_SB_SD_
    .private_segment_fixed_size: 0
    .sgpr_count:     55
    .sgpr_spill_count: 0
    .symbol:         _ZN9rocsparseL17kernel_correctionILi1024ELi8E21rocsparse_complex_numIdEiiEEvT3_T2_PKS4_S6_PKS3_PKT1_21rocsparse_index_base_S6_S6_S8_SB_PS9_SC_S6_S6_S8_SB_SD_SC_SB_SD_.kd
    .uniform_work_group_size: 1
    .uses_dynamic_stack: false
    .vgpr_count:     37
    .vgpr_spill_count: 0
    .wavefront_size: 32
    .workgroup_processor_mode: 1
  - .args:
      - .offset:         0
        .size:           4
        .value_kind:     by_value
      - .offset:         4
        .size:           4
        .value_kind:     by_value
      - .actual_access:  read_only
        .address_space:  global
        .offset:         8
        .size:           8
        .value_kind:     global_buffer
      - .actual_access:  read_only
        .address_space:  global
        .offset:         16
        .size:           8
        .value_kind:     global_buffer
      - .actual_access:  read_only
        .address_space:  global
        .offset:         24
        .size:           8
        .value_kind:     global_buffer
      - .actual_access:  read_only
        .address_space:  global
        .offset:         32
        .size:           8
        .value_kind:     global_buffer
      - .offset:         40
        .size:           4
        .value_kind:     by_value
      - .actual_access:  read_only
        .address_space:  global
        .offset:         48
        .size:           8
        .value_kind:     global_buffer
      - .actual_access:  read_only
        .address_space:  global
        .offset:         56
        .size:           8
        .value_kind:     global_buffer
      - .actual_access:  read_only
        .address_space:  global
        .offset:         64
        .size:           8
        .value_kind:     global_buffer
      - .actual_access:  read_only
        .address_space:  global
        .offset:         72
        .size:           8
        .value_kind:     global_buffer
      - .actual_access:  write_only
        .address_space:  global
        .offset:         80
        .size:           8
        .value_kind:     global_buffer
      - .offset:         88
        .size:           4
        .value_kind:     by_value
      - .actual_access:  read_only
        .address_space:  global
        .offset:         96
        .size:           8
        .value_kind:     global_buffer
      - .actual_access:  read_only
        .address_space:  global
        .offset:         104
        .size:           8
        .value_kind:     global_buffer
      - .actual_access:  read_only
        .address_space:  global
        .offset:         112
        .size:           8
        .value_kind:     global_buffer
      - .actual_access:  read_only
        .address_space:  global
        .offset:         120
        .size:           8
        .value_kind:     global_buffer
      - .actual_access:  write_only
        .address_space:  global
        .offset:         128
        .size:           8
        .value_kind:     global_buffer
      - .offset:         136
        .size:           4
        .value_kind:     by_value
      - .actual_access:  read_only
        .address_space:  global
        .offset:         144
        .size:           8
        .value_kind:     global_buffer
      - .actual_access:  write_only
        .address_space:  global
        .offset:         152
        .size:           8
        .value_kind:     global_buffer
    .group_segment_fixed_size: 0
    .kernarg_segment_align: 8
    .kernarg_segment_size: 160
    .language:       OpenCL C
    .language_version:
      - 2
      - 0
    .max_flat_workgroup_size: 1024
    .name:           _ZN9rocsparseL17kernel_correctionILi1024ELi16E21rocsparse_complex_numIdEiiEEvT3_T2_PKS4_S6_PKS3_PKT1_21rocsparse_index_base_S6_S6_S8_SB_PS9_SC_S6_S6_S8_SB_SD_SC_SB_SD_
    .private_segment_fixed_size: 0
    .sgpr_count:     55
    .sgpr_spill_count: 0
    .symbol:         _ZN9rocsparseL17kernel_correctionILi1024ELi16E21rocsparse_complex_numIdEiiEEvT3_T2_PKS4_S6_PKS3_PKT1_21rocsparse_index_base_S6_S6_S8_SB_PS9_SC_S6_S6_S8_SB_SD_SC_SB_SD_.kd
    .uniform_work_group_size: 1
    .uses_dynamic_stack: false
    .vgpr_count:     37
    .vgpr_spill_count: 0
    .wavefront_size: 32
    .workgroup_processor_mode: 1
  - .args:
      - .offset:         0
        .size:           4
        .value_kind:     by_value
      - .offset:         4
        .size:           4
        .value_kind:     by_value
      - .actual_access:  read_only
        .address_space:  global
        .offset:         8
        .size:           8
        .value_kind:     global_buffer
      - .actual_access:  read_only
        .address_space:  global
        .offset:         16
        .size:           8
        .value_kind:     global_buffer
      - .actual_access:  read_only
        .address_space:  global
        .offset:         24
        .size:           8
        .value_kind:     global_buffer
      - .actual_access:  read_only
        .address_space:  global
        .offset:         32
        .size:           8
        .value_kind:     global_buffer
      - .offset:         40
        .size:           4
        .value_kind:     by_value
      - .actual_access:  read_only
        .address_space:  global
        .offset:         48
        .size:           8
        .value_kind:     global_buffer
      - .actual_access:  read_only
        .address_space:  global
        .offset:         56
        .size:           8
        .value_kind:     global_buffer
      - .actual_access:  read_only
        .address_space:  global
        .offset:         64
        .size:           8
        .value_kind:     global_buffer
      - .actual_access:  read_only
        .address_space:  global
        .offset:         72
        .size:           8
        .value_kind:     global_buffer
      - .actual_access:  write_only
        .address_space:  global
        .offset:         80
        .size:           8
        .value_kind:     global_buffer
      - .offset:         88
        .size:           4
        .value_kind:     by_value
      - .actual_access:  read_only
        .address_space:  global
        .offset:         96
        .size:           8
        .value_kind:     global_buffer
      - .actual_access:  read_only
        .address_space:  global
        .offset:         104
        .size:           8
        .value_kind:     global_buffer
      - .actual_access:  read_only
        .address_space:  global
        .offset:         112
        .size:           8
        .value_kind:     global_buffer
      - .actual_access:  read_only
        .address_space:  global
        .offset:         120
        .size:           8
        .value_kind:     global_buffer
      - .actual_access:  write_only
        .address_space:  global
        .offset:         128
        .size:           8
        .value_kind:     global_buffer
      - .offset:         136
        .size:           4
        .value_kind:     by_value
      - .actual_access:  read_only
        .address_space:  global
        .offset:         144
        .size:           8
        .value_kind:     global_buffer
      - .actual_access:  write_only
        .address_space:  global
        .offset:         152
        .size:           8
        .value_kind:     global_buffer
    .group_segment_fixed_size: 0
    .kernarg_segment_align: 8
    .kernarg_segment_size: 160
    .language:       OpenCL C
    .language_version:
      - 2
      - 0
    .max_flat_workgroup_size: 1024
    .name:           _ZN9rocsparseL17kernel_correctionILi1024ELi32E21rocsparse_complex_numIdEiiEEvT3_T2_PKS4_S6_PKS3_PKT1_21rocsparse_index_base_S6_S6_S8_SB_PS9_SC_S6_S6_S8_SB_SD_SC_SB_SD_
    .private_segment_fixed_size: 0
    .sgpr_count:     55
    .sgpr_spill_count: 0
    .symbol:         _ZN9rocsparseL17kernel_correctionILi1024ELi32E21rocsparse_complex_numIdEiiEEvT3_T2_PKS4_S6_PKS3_PKT1_21rocsparse_index_base_S6_S6_S8_SB_PS9_SC_S6_S6_S8_SB_SD_SC_SB_SD_.kd
    .uniform_work_group_size: 1
    .uses_dynamic_stack: false
    .vgpr_count:     37
    .vgpr_spill_count: 0
    .wavefront_size: 32
    .workgroup_processor_mode: 1
  - .args:
      - .offset:         0
        .size:           4
        .value_kind:     by_value
      - .offset:         4
        .size:           4
        .value_kind:     by_value
      - .actual_access:  read_only
        .address_space:  global
        .offset:         8
        .size:           8
        .value_kind:     global_buffer
      - .actual_access:  read_only
        .address_space:  global
        .offset:         16
        .size:           8
        .value_kind:     global_buffer
      - .actual_access:  read_only
        .address_space:  global
        .offset:         24
        .size:           8
        .value_kind:     global_buffer
      - .actual_access:  read_only
        .address_space:  global
        .offset:         32
        .size:           8
        .value_kind:     global_buffer
      - .offset:         40
        .size:           4
        .value_kind:     by_value
      - .actual_access:  read_only
        .address_space:  global
        .offset:         48
        .size:           8
        .value_kind:     global_buffer
      - .actual_access:  read_only
        .address_space:  global
        .offset:         56
        .size:           8
        .value_kind:     global_buffer
      - .actual_access:  read_only
        .address_space:  global
        .offset:         64
        .size:           8
        .value_kind:     global_buffer
      - .actual_access:  read_only
        .address_space:  global
        .offset:         72
        .size:           8
        .value_kind:     global_buffer
      - .actual_access:  write_only
        .address_space:  global
        .offset:         80
        .size:           8
        .value_kind:     global_buffer
      - .offset:         88
        .size:           4
        .value_kind:     by_value
      - .actual_access:  read_only
        .address_space:  global
        .offset:         96
        .size:           8
        .value_kind:     global_buffer
      - .actual_access:  read_only
        .address_space:  global
        .offset:         104
        .size:           8
        .value_kind:     global_buffer
      - .actual_access:  read_only
        .address_space:  global
        .offset:         112
        .size:           8
        .value_kind:     global_buffer
      - .actual_access:  read_only
        .address_space:  global
        .offset:         120
        .size:           8
        .value_kind:     global_buffer
      - .actual_access:  write_only
        .address_space:  global
        .offset:         128
        .size:           8
        .value_kind:     global_buffer
      - .offset:         136
        .size:           4
        .value_kind:     by_value
      - .actual_access:  read_only
        .address_space:  global
        .offset:         144
        .size:           8
        .value_kind:     global_buffer
      - .actual_access:  write_only
        .address_space:  global
        .offset:         152
        .size:           8
        .value_kind:     global_buffer
    .group_segment_fixed_size: 0
    .kernarg_segment_align: 8
    .kernarg_segment_size: 160
    .language:       OpenCL C
    .language_version:
      - 2
      - 0
    .max_flat_workgroup_size: 1024
    .name:           _ZN9rocsparseL17kernel_correctionILi1024ELi64E21rocsparse_complex_numIdEiiEEvT3_T2_PKS4_S6_PKS3_PKT1_21rocsparse_index_base_S6_S6_S8_SB_PS9_SC_S6_S6_S8_SB_SD_SC_SB_SD_
    .private_segment_fixed_size: 0
    .sgpr_count:     55
    .sgpr_spill_count: 0
    .symbol:         _ZN9rocsparseL17kernel_correctionILi1024ELi64E21rocsparse_complex_numIdEiiEEvT3_T2_PKS4_S6_PKS3_PKT1_21rocsparse_index_base_S6_S6_S8_SB_PS9_SC_S6_S6_S8_SB_SD_SC_SB_SD_.kd
    .uniform_work_group_size: 1
    .uses_dynamic_stack: false
    .vgpr_count:     37
    .vgpr_spill_count: 0
    .wavefront_size: 32
    .workgroup_processor_mode: 1
  - .args:
      - .offset:         0
        .size:           4
        .value_kind:     by_value
      - .offset:         4
        .size:           4
        .value_kind:     by_value
      - .actual_access:  read_only
        .address_space:  global
        .offset:         8
        .size:           8
        .value_kind:     global_buffer
      - .actual_access:  read_only
        .address_space:  global
        .offset:         16
        .size:           8
        .value_kind:     global_buffer
      - .actual_access:  read_only
        .address_space:  global
        .offset:         24
        .size:           8
        .value_kind:     global_buffer
      - .actual_access:  read_only
        .address_space:  global
        .offset:         32
        .size:           8
        .value_kind:     global_buffer
      - .offset:         40
        .size:           4
        .value_kind:     by_value
      - .actual_access:  read_only
        .address_space:  global
        .offset:         48
        .size:           8
        .value_kind:     global_buffer
      - .actual_access:  read_only
        .address_space:  global
        .offset:         56
        .size:           8
        .value_kind:     global_buffer
      - .actual_access:  read_only
        .address_space:  global
        .offset:         64
        .size:           8
        .value_kind:     global_buffer
      - .actual_access:  read_only
        .address_space:  global
        .offset:         72
        .size:           8
        .value_kind:     global_buffer
      - .offset:         80
        .size:           4
        .value_kind:     by_value
      - .actual_access:  read_only
        .address_space:  global
        .offset:         88
        .size:           8
        .value_kind:     global_buffer
      - .actual_access:  read_only
        .address_space:  global
        .offset:         96
        .size:           8
        .value_kind:     global_buffer
      - .actual_access:  read_only
        .address_space:  global
        .offset:         104
        .size:           8
        .value_kind:     global_buffer
      - .actual_access:  read_only
        .address_space:  global
        .offset:         112
        .size:           8
        .value_kind:     global_buffer
      - .offset:         120
        .size:           4
        .value_kind:     by_value
      - .actual_access:  read_only
        .address_space:  global
        .offset:         128
        .size:           8
        .value_kind:     global_buffer
      - .address_space:  global
        .offset:         136
        .size:           8
        .value_kind:     global_buffer
      - .actual_access:  read_only
        .address_space:  global
        .offset:         144
        .size:           8
        .value_kind:     global_buffer
    .group_segment_fixed_size: 8192
    .kernarg_segment_align: 8
    .kernarg_segment_size: 152
    .language:       OpenCL C
    .language_version:
      - 2
      - 0
    .max_flat_workgroup_size: 1024
    .name:           _ZN9rocsparseL19kernel_nrm_residualILi1024ELi1E21rocsparse_complex_numIdEiiEEvT3_T2_PKS4_S6_PKS3_PKT1_21rocsparse_index_base_S6_S6_S8_SB_SC_S6_S6_S8_SB_SC_SB_PNS_15floating_traitsIS9_E6data_tEPKSF_
    .private_segment_fixed_size: 0
    .sgpr_count:     51
    .sgpr_spill_count: 0
    .symbol:         _ZN9rocsparseL19kernel_nrm_residualILi1024ELi1E21rocsparse_complex_numIdEiiEEvT3_T2_PKS4_S6_PKS3_PKT1_21rocsparse_index_base_S6_S6_S8_SB_SC_S6_S6_S8_SB_SC_SB_PNS_15floating_traitsIS9_E6data_tEPKSF_.kd
    .uniform_work_group_size: 1
    .uses_dynamic_stack: false
    .vgpr_count:     39
    .vgpr_spill_count: 0
    .wavefront_size: 32
    .workgroup_processor_mode: 1
  - .args:
      - .offset:         0
        .size:           4
        .value_kind:     by_value
      - .offset:         4
        .size:           4
        .value_kind:     by_value
      - .actual_access:  read_only
        .address_space:  global
        .offset:         8
        .size:           8
        .value_kind:     global_buffer
      - .actual_access:  read_only
        .address_space:  global
        .offset:         16
        .size:           8
        .value_kind:     global_buffer
      - .actual_access:  read_only
        .address_space:  global
        .offset:         24
        .size:           8
        .value_kind:     global_buffer
      - .actual_access:  read_only
        .address_space:  global
        .offset:         32
        .size:           8
        .value_kind:     global_buffer
      - .offset:         40
        .size:           4
        .value_kind:     by_value
      - .actual_access:  read_only
        .address_space:  global
        .offset:         48
        .size:           8
        .value_kind:     global_buffer
      - .actual_access:  read_only
        .address_space:  global
        .offset:         56
        .size:           8
        .value_kind:     global_buffer
      - .actual_access:  read_only
        .address_space:  global
        .offset:         64
        .size:           8
        .value_kind:     global_buffer
      - .actual_access:  read_only
        .address_space:  global
        .offset:         72
        .size:           8
        .value_kind:     global_buffer
      - .offset:         80
        .size:           4
        .value_kind:     by_value
      - .actual_access:  read_only
        .address_space:  global
        .offset:         88
        .size:           8
        .value_kind:     global_buffer
      - .actual_access:  read_only
        .address_space:  global
        .offset:         96
        .size:           8
        .value_kind:     global_buffer
      - .actual_access:  read_only
        .address_space:  global
        .offset:         104
        .size:           8
        .value_kind:     global_buffer
      - .actual_access:  read_only
        .address_space:  global
        .offset:         112
        .size:           8
        .value_kind:     global_buffer
      - .offset:         120
        .size:           4
        .value_kind:     by_value
      - .actual_access:  read_only
        .address_space:  global
        .offset:         128
        .size:           8
        .value_kind:     global_buffer
      - .address_space:  global
        .offset:         136
        .size:           8
        .value_kind:     global_buffer
      - .actual_access:  read_only
        .address_space:  global
        .offset:         144
        .size:           8
        .value_kind:     global_buffer
    .group_segment_fixed_size: 4096
    .kernarg_segment_align: 8
    .kernarg_segment_size: 152
    .language:       OpenCL C
    .language_version:
      - 2
      - 0
    .max_flat_workgroup_size: 1024
    .name:           _ZN9rocsparseL19kernel_nrm_residualILi1024ELi2E21rocsparse_complex_numIdEiiEEvT3_T2_PKS4_S6_PKS3_PKT1_21rocsparse_index_base_S6_S6_S8_SB_SC_S6_S6_S8_SB_SC_SB_PNS_15floating_traitsIS9_E6data_tEPKSF_
    .private_segment_fixed_size: 0
    .sgpr_count:     51
    .sgpr_spill_count: 0
    .symbol:         _ZN9rocsparseL19kernel_nrm_residualILi1024ELi2E21rocsparse_complex_numIdEiiEEvT3_T2_PKS4_S6_PKS3_PKT1_21rocsparse_index_base_S6_S6_S8_SB_SC_S6_S6_S8_SB_SC_SB_PNS_15floating_traitsIS9_E6data_tEPKSF_.kd
    .uniform_work_group_size: 1
    .uses_dynamic_stack: false
    .vgpr_count:     42
    .vgpr_spill_count: 0
    .wavefront_size: 32
    .workgroup_processor_mode: 1
  - .args:
      - .offset:         0
        .size:           4
        .value_kind:     by_value
      - .offset:         4
        .size:           4
        .value_kind:     by_value
      - .actual_access:  read_only
        .address_space:  global
        .offset:         8
        .size:           8
        .value_kind:     global_buffer
      - .actual_access:  read_only
        .address_space:  global
        .offset:         16
        .size:           8
        .value_kind:     global_buffer
      - .actual_access:  read_only
        .address_space:  global
        .offset:         24
        .size:           8
        .value_kind:     global_buffer
      - .actual_access:  read_only
        .address_space:  global
        .offset:         32
        .size:           8
        .value_kind:     global_buffer
      - .offset:         40
        .size:           4
        .value_kind:     by_value
      - .actual_access:  read_only
        .address_space:  global
        .offset:         48
        .size:           8
        .value_kind:     global_buffer
      - .actual_access:  read_only
        .address_space:  global
        .offset:         56
        .size:           8
        .value_kind:     global_buffer
      - .actual_access:  read_only
        .address_space:  global
        .offset:         64
        .size:           8
        .value_kind:     global_buffer
      - .actual_access:  read_only
        .address_space:  global
        .offset:         72
        .size:           8
        .value_kind:     global_buffer
      - .offset:         80
        .size:           4
        .value_kind:     by_value
      - .actual_access:  read_only
        .address_space:  global
        .offset:         88
        .size:           8
        .value_kind:     global_buffer
      - .actual_access:  read_only
        .address_space:  global
        .offset:         96
        .size:           8
        .value_kind:     global_buffer
      - .actual_access:  read_only
        .address_space:  global
        .offset:         104
        .size:           8
        .value_kind:     global_buffer
      - .actual_access:  read_only
        .address_space:  global
        .offset:         112
        .size:           8
        .value_kind:     global_buffer
      - .offset:         120
        .size:           4
        .value_kind:     by_value
      - .actual_access:  read_only
        .address_space:  global
        .offset:         128
        .size:           8
        .value_kind:     global_buffer
      - .address_space:  global
        .offset:         136
        .size:           8
        .value_kind:     global_buffer
      - .actual_access:  read_only
        .address_space:  global
        .offset:         144
        .size:           8
        .value_kind:     global_buffer
    .group_segment_fixed_size: 2048
    .kernarg_segment_align: 8
    .kernarg_segment_size: 152
    .language:       OpenCL C
    .language_version:
      - 2
      - 0
    .max_flat_workgroup_size: 1024
    .name:           _ZN9rocsparseL19kernel_nrm_residualILi1024ELi4E21rocsparse_complex_numIdEiiEEvT3_T2_PKS4_S6_PKS3_PKT1_21rocsparse_index_base_S6_S6_S8_SB_SC_S6_S6_S8_SB_SC_SB_PNS_15floating_traitsIS9_E6data_tEPKSF_
    .private_segment_fixed_size: 0
    .sgpr_count:     51
    .sgpr_spill_count: 0
    .symbol:         _ZN9rocsparseL19kernel_nrm_residualILi1024ELi4E21rocsparse_complex_numIdEiiEEvT3_T2_PKS4_S6_PKS3_PKT1_21rocsparse_index_base_S6_S6_S8_SB_SC_S6_S6_S8_SB_SC_SB_PNS_15floating_traitsIS9_E6data_tEPKSF_.kd
    .uniform_work_group_size: 1
    .uses_dynamic_stack: false
    .vgpr_count:     42
    .vgpr_spill_count: 0
    .wavefront_size: 32
    .workgroup_processor_mode: 1
  - .args:
      - .offset:         0
        .size:           4
        .value_kind:     by_value
      - .offset:         4
        .size:           4
        .value_kind:     by_value
      - .actual_access:  read_only
        .address_space:  global
        .offset:         8
        .size:           8
        .value_kind:     global_buffer
      - .actual_access:  read_only
        .address_space:  global
        .offset:         16
        .size:           8
        .value_kind:     global_buffer
      - .actual_access:  read_only
        .address_space:  global
        .offset:         24
        .size:           8
        .value_kind:     global_buffer
      - .actual_access:  read_only
        .address_space:  global
        .offset:         32
        .size:           8
        .value_kind:     global_buffer
      - .offset:         40
        .size:           4
        .value_kind:     by_value
      - .actual_access:  read_only
        .address_space:  global
        .offset:         48
        .size:           8
        .value_kind:     global_buffer
      - .actual_access:  read_only
        .address_space:  global
        .offset:         56
        .size:           8
        .value_kind:     global_buffer
      - .actual_access:  read_only
        .address_space:  global
        .offset:         64
        .size:           8
        .value_kind:     global_buffer
      - .actual_access:  read_only
        .address_space:  global
        .offset:         72
        .size:           8
        .value_kind:     global_buffer
      - .offset:         80
        .size:           4
        .value_kind:     by_value
      - .actual_access:  read_only
        .address_space:  global
        .offset:         88
        .size:           8
        .value_kind:     global_buffer
      - .actual_access:  read_only
        .address_space:  global
        .offset:         96
        .size:           8
        .value_kind:     global_buffer
      - .actual_access:  read_only
        .address_space:  global
        .offset:         104
        .size:           8
        .value_kind:     global_buffer
      - .actual_access:  read_only
        .address_space:  global
        .offset:         112
        .size:           8
        .value_kind:     global_buffer
      - .offset:         120
        .size:           4
        .value_kind:     by_value
      - .actual_access:  read_only
        .address_space:  global
        .offset:         128
        .size:           8
        .value_kind:     global_buffer
      - .address_space:  global
        .offset:         136
        .size:           8
        .value_kind:     global_buffer
      - .actual_access:  read_only
        .address_space:  global
        .offset:         144
        .size:           8
        .value_kind:     global_buffer
    .group_segment_fixed_size: 1024
    .kernarg_segment_align: 8
    .kernarg_segment_size: 152
    .language:       OpenCL C
    .language_version:
      - 2
      - 0
    .max_flat_workgroup_size: 1024
    .name:           _ZN9rocsparseL19kernel_nrm_residualILi1024ELi8E21rocsparse_complex_numIdEiiEEvT3_T2_PKS4_S6_PKS3_PKT1_21rocsparse_index_base_S6_S6_S8_SB_SC_S6_S6_S8_SB_SC_SB_PNS_15floating_traitsIS9_E6data_tEPKSF_
    .private_segment_fixed_size: 0
    .sgpr_count:     51
    .sgpr_spill_count: 0
    .symbol:         _ZN9rocsparseL19kernel_nrm_residualILi1024ELi8E21rocsparse_complex_numIdEiiEEvT3_T2_PKS4_S6_PKS3_PKT1_21rocsparse_index_base_S6_S6_S8_SB_SC_S6_S6_S8_SB_SC_SB_PNS_15floating_traitsIS9_E6data_tEPKSF_.kd
    .uniform_work_group_size: 1
    .uses_dynamic_stack: false
    .vgpr_count:     42
    .vgpr_spill_count: 0
    .wavefront_size: 32
    .workgroup_processor_mode: 1
  - .args:
      - .offset:         0
        .size:           4
        .value_kind:     by_value
      - .offset:         4
        .size:           4
        .value_kind:     by_value
      - .actual_access:  read_only
        .address_space:  global
        .offset:         8
        .size:           8
        .value_kind:     global_buffer
      - .actual_access:  read_only
        .address_space:  global
        .offset:         16
        .size:           8
        .value_kind:     global_buffer
      - .actual_access:  read_only
        .address_space:  global
        .offset:         24
        .size:           8
        .value_kind:     global_buffer
      - .actual_access:  read_only
        .address_space:  global
        .offset:         32
        .size:           8
        .value_kind:     global_buffer
      - .offset:         40
        .size:           4
        .value_kind:     by_value
      - .actual_access:  read_only
        .address_space:  global
        .offset:         48
        .size:           8
        .value_kind:     global_buffer
      - .actual_access:  read_only
        .address_space:  global
        .offset:         56
        .size:           8
        .value_kind:     global_buffer
      - .actual_access:  read_only
        .address_space:  global
        .offset:         64
        .size:           8
        .value_kind:     global_buffer
      - .actual_access:  read_only
        .address_space:  global
        .offset:         72
        .size:           8
        .value_kind:     global_buffer
      - .offset:         80
        .size:           4
        .value_kind:     by_value
      - .actual_access:  read_only
        .address_space:  global
        .offset:         88
        .size:           8
        .value_kind:     global_buffer
      - .actual_access:  read_only
        .address_space:  global
        .offset:         96
        .size:           8
        .value_kind:     global_buffer
      - .actual_access:  read_only
        .address_space:  global
        .offset:         104
        .size:           8
        .value_kind:     global_buffer
      - .actual_access:  read_only
        .address_space:  global
        .offset:         112
        .size:           8
        .value_kind:     global_buffer
      - .offset:         120
        .size:           4
        .value_kind:     by_value
      - .actual_access:  read_only
        .address_space:  global
        .offset:         128
        .size:           8
        .value_kind:     global_buffer
      - .address_space:  global
        .offset:         136
        .size:           8
        .value_kind:     global_buffer
      - .actual_access:  read_only
        .address_space:  global
        .offset:         144
        .size:           8
        .value_kind:     global_buffer
    .group_segment_fixed_size: 512
    .kernarg_segment_align: 8
    .kernarg_segment_size: 152
    .language:       OpenCL C
    .language_version:
      - 2
      - 0
    .max_flat_workgroup_size: 1024
    .name:           _ZN9rocsparseL19kernel_nrm_residualILi1024ELi16E21rocsparse_complex_numIdEiiEEvT3_T2_PKS4_S6_PKS3_PKT1_21rocsparse_index_base_S6_S6_S8_SB_SC_S6_S6_S8_SB_SC_SB_PNS_15floating_traitsIS9_E6data_tEPKSF_
    .private_segment_fixed_size: 0
    .sgpr_count:     51
    .sgpr_spill_count: 0
    .symbol:         _ZN9rocsparseL19kernel_nrm_residualILi1024ELi16E21rocsparse_complex_numIdEiiEEvT3_T2_PKS4_S6_PKS3_PKT1_21rocsparse_index_base_S6_S6_S8_SB_SC_S6_S6_S8_SB_SC_SB_PNS_15floating_traitsIS9_E6data_tEPKSF_.kd
    .uniform_work_group_size: 1
    .uses_dynamic_stack: false
    .vgpr_count:     42
    .vgpr_spill_count: 0
    .wavefront_size: 32
    .workgroup_processor_mode: 1
  - .args:
      - .offset:         0
        .size:           4
        .value_kind:     by_value
      - .offset:         4
        .size:           4
        .value_kind:     by_value
      - .actual_access:  read_only
        .address_space:  global
        .offset:         8
        .size:           8
        .value_kind:     global_buffer
      - .actual_access:  read_only
        .address_space:  global
        .offset:         16
        .size:           8
        .value_kind:     global_buffer
      - .actual_access:  read_only
        .address_space:  global
        .offset:         24
        .size:           8
        .value_kind:     global_buffer
      - .actual_access:  read_only
        .address_space:  global
        .offset:         32
        .size:           8
        .value_kind:     global_buffer
      - .offset:         40
        .size:           4
        .value_kind:     by_value
      - .actual_access:  read_only
        .address_space:  global
        .offset:         48
        .size:           8
        .value_kind:     global_buffer
      - .actual_access:  read_only
        .address_space:  global
        .offset:         56
        .size:           8
        .value_kind:     global_buffer
      - .actual_access:  read_only
        .address_space:  global
        .offset:         64
        .size:           8
        .value_kind:     global_buffer
      - .actual_access:  read_only
        .address_space:  global
        .offset:         72
        .size:           8
        .value_kind:     global_buffer
      - .offset:         80
        .size:           4
        .value_kind:     by_value
      - .actual_access:  read_only
        .address_space:  global
        .offset:         88
        .size:           8
        .value_kind:     global_buffer
      - .actual_access:  read_only
        .address_space:  global
        .offset:         96
        .size:           8
        .value_kind:     global_buffer
      - .actual_access:  read_only
        .address_space:  global
        .offset:         104
        .size:           8
        .value_kind:     global_buffer
      - .actual_access:  read_only
        .address_space:  global
        .offset:         112
        .size:           8
        .value_kind:     global_buffer
      - .offset:         120
        .size:           4
        .value_kind:     by_value
      - .actual_access:  read_only
        .address_space:  global
        .offset:         128
        .size:           8
        .value_kind:     global_buffer
      - .address_space:  global
        .offset:         136
        .size:           8
        .value_kind:     global_buffer
      - .actual_access:  read_only
        .address_space:  global
        .offset:         144
        .size:           8
        .value_kind:     global_buffer
    .group_segment_fixed_size: 256
    .kernarg_segment_align: 8
    .kernarg_segment_size: 152
    .language:       OpenCL C
    .language_version:
      - 2
      - 0
    .max_flat_workgroup_size: 1024
    .name:           _ZN9rocsparseL19kernel_nrm_residualILi1024ELi32E21rocsparse_complex_numIdEiiEEvT3_T2_PKS4_S6_PKS3_PKT1_21rocsparse_index_base_S6_S6_S8_SB_SC_S6_S6_S8_SB_SC_SB_PNS_15floating_traitsIS9_E6data_tEPKSF_
    .private_segment_fixed_size: 0
    .sgpr_count:     51
    .sgpr_spill_count: 0
    .symbol:         _ZN9rocsparseL19kernel_nrm_residualILi1024ELi32E21rocsparse_complex_numIdEiiEEvT3_T2_PKS4_S6_PKS3_PKT1_21rocsparse_index_base_S6_S6_S8_SB_SC_S6_S6_S8_SB_SC_SB_PNS_15floating_traitsIS9_E6data_tEPKSF_.kd
    .uniform_work_group_size: 1
    .uses_dynamic_stack: false
    .vgpr_count:     42
    .vgpr_spill_count: 0
    .wavefront_size: 32
    .workgroup_processor_mode: 1
  - .args:
      - .offset:         0
        .size:           4
        .value_kind:     by_value
      - .offset:         4
        .size:           4
        .value_kind:     by_value
      - .actual_access:  read_only
        .address_space:  global
        .offset:         8
        .size:           8
        .value_kind:     global_buffer
      - .actual_access:  read_only
        .address_space:  global
        .offset:         16
        .size:           8
        .value_kind:     global_buffer
      - .actual_access:  read_only
        .address_space:  global
        .offset:         24
        .size:           8
        .value_kind:     global_buffer
      - .actual_access:  read_only
        .address_space:  global
        .offset:         32
        .size:           8
        .value_kind:     global_buffer
      - .offset:         40
        .size:           4
        .value_kind:     by_value
      - .actual_access:  read_only
        .address_space:  global
        .offset:         48
        .size:           8
        .value_kind:     global_buffer
      - .actual_access:  read_only
        .address_space:  global
        .offset:         56
        .size:           8
        .value_kind:     global_buffer
      - .actual_access:  read_only
        .address_space:  global
        .offset:         64
        .size:           8
        .value_kind:     global_buffer
      - .actual_access:  read_only
        .address_space:  global
        .offset:         72
        .size:           8
        .value_kind:     global_buffer
      - .offset:         80
        .size:           4
        .value_kind:     by_value
      - .actual_access:  read_only
        .address_space:  global
        .offset:         88
        .size:           8
        .value_kind:     global_buffer
      - .actual_access:  read_only
        .address_space:  global
        .offset:         96
        .size:           8
        .value_kind:     global_buffer
      - .actual_access:  read_only
        .address_space:  global
        .offset:         104
        .size:           8
        .value_kind:     global_buffer
      - .actual_access:  read_only
        .address_space:  global
        .offset:         112
        .size:           8
        .value_kind:     global_buffer
      - .offset:         120
        .size:           4
        .value_kind:     by_value
      - .actual_access:  read_only
        .address_space:  global
        .offset:         128
        .size:           8
        .value_kind:     global_buffer
      - .address_space:  global
        .offset:         136
        .size:           8
        .value_kind:     global_buffer
      - .actual_access:  read_only
        .address_space:  global
        .offset:         144
        .size:           8
        .value_kind:     global_buffer
    .group_segment_fixed_size: 128
    .kernarg_segment_align: 8
    .kernarg_segment_size: 152
    .language:       OpenCL C
    .language_version:
      - 2
      - 0
    .max_flat_workgroup_size: 1024
    .name:           _ZN9rocsparseL19kernel_nrm_residualILi1024ELi64E21rocsparse_complex_numIdEiiEEvT3_T2_PKS4_S6_PKS3_PKT1_21rocsparse_index_base_S6_S6_S8_SB_SC_S6_S6_S8_SB_SC_SB_PNS_15floating_traitsIS9_E6data_tEPKSF_
    .private_segment_fixed_size: 0
    .sgpr_count:     51
    .sgpr_spill_count: 0
    .symbol:         _ZN9rocsparseL19kernel_nrm_residualILi1024ELi64E21rocsparse_complex_numIdEiiEEvT3_T2_PKS4_S6_PKS3_PKT1_21rocsparse_index_base_S6_S6_S8_SB_SC_S6_S6_S8_SB_SC_SB_PNS_15floating_traitsIS9_E6data_tEPKSF_.kd
    .uniform_work_group_size: 1
    .uses_dynamic_stack: false
    .vgpr_count:     42
    .vgpr_spill_count: 0
    .wavefront_size: 32
    .workgroup_processor_mode: 1
amdhsa.target:   amdgcn-amd-amdhsa--gfx1030
amdhsa.version:
  - 1
  - 2
...

	.end_amdgpu_metadata
